;; amdgpu-corpus repo=ROCm/rocFFT kind=compiled arch=gfx950 opt=O3
	.text
	.amdgcn_target "amdgcn-amd-amdhsa--gfx950"
	.amdhsa_code_object_version 6
	.protected	fft_rtc_fwd_len408_factors_17_3_8_wgs_51_tpt_17_halfLds_sp_ip_CI_unitstride_sbrr_dirReg ; -- Begin function fft_rtc_fwd_len408_factors_17_3_8_wgs_51_tpt_17_halfLds_sp_ip_CI_unitstride_sbrr_dirReg
	.globl	fft_rtc_fwd_len408_factors_17_3_8_wgs_51_tpt_17_halfLds_sp_ip_CI_unitstride_sbrr_dirReg
	.p2align	8
	.type	fft_rtc_fwd_len408_factors_17_3_8_wgs_51_tpt_17_halfLds_sp_ip_CI_unitstride_sbrr_dirReg,@function
fft_rtc_fwd_len408_factors_17_3_8_wgs_51_tpt_17_halfLds_sp_ip_CI_unitstride_sbrr_dirReg: ; @fft_rtc_fwd_len408_factors_17_3_8_wgs_51_tpt_17_halfLds_sp_ip_CI_unitstride_sbrr_dirReg
; %bb.0:
	s_load_dwordx2 s[4:5], s[0:1], 0x50
	s_load_dwordx4 s[8:11], s[0:1], 0x0
	s_load_dwordx2 s[6:7], s[0:1], 0x18
	v_mul_u32_u24_e32 v1, 0xf10, v0
	v_lshrrev_b32_e32 v2, 16, v1
                                        ; implicit-def: $vgpr194 : SGPR spill to VGPR lane
	v_mad_u64_u32 v[72:73], s[2:3], s2, 3, v[2:3]
	v_mov_b32_e32 v2, 0
	s_waitcnt lgkmcnt(0)
	v_writelane_b32 v194, s8, 0
	v_mov_b32_e32 v73, v2
	v_mov_b64_e32 v[4:5], 0
	v_writelane_b32 v194, s9, 1
	v_cmp_lt_u64_e64 s[2:3], s[10:11], 2
	v_writelane_b32 v194, s10, 2
	s_and_b64 vcc, exec, s[2:3]
	v_mov_b64_e32 v[8:9], v[72:73]
	v_writelane_b32 v194, s11, 3
	s_cbranch_vccnz .LBB0_8
; %bb.1:
	s_load_dwordx2 s[2:3], s[0:1], 0x10
	s_add_u32 s8, s6, 8
	s_addc_u32 s9, s7, 0
	s_mov_b64 s[10:11], 1
	v_mov_b64_e32 v[4:5], 0
	s_waitcnt lgkmcnt(0)
	s_add_u32 s12, s2, 8
	s_addc_u32 s13, s3, 0
	v_mov_b64_e32 v[6:7], v[72:73]
.LBB0_2:                                ; =>This Inner Loop Header: Depth=1
	s_load_dwordx2 s[14:15], s[12:13], 0x0
                                        ; implicit-def: $vgpr8_vgpr9
	s_waitcnt lgkmcnt(0)
	v_or_b32_e32 v3, s15, v7
	v_cmp_ne_u64_e32 vcc, 0, v[2:3]
	s_and_saveexec_b64 s[2:3], vcc
	s_xor_b64 s[16:17], exec, s[2:3]
	s_cbranch_execz .LBB0_4
; %bb.3:                                ;   in Loop: Header=BB0_2 Depth=1
	v_cvt_f32_u32_e32 v1, s14
	v_cvt_f32_u32_e32 v3, s15
	s_sub_u32 s2, 0, s14
	s_subb_u32 s3, 0, s15
	v_fmac_f32_e32 v1, 0x4f800000, v3
	v_rcp_f32_e32 v1, v1
	s_nop 0
	v_mul_f32_e32 v1, 0x5f7ffffc, v1
	v_mul_f32_e32 v3, 0x2f800000, v1
	v_trunc_f32_e32 v3, v3
	v_fmac_f32_e32 v1, 0xcf800000, v3
	v_cvt_u32_f32_e32 v3, v3
	v_cvt_u32_f32_e32 v1, v1
	v_mul_lo_u32 v8, s2, v3
	v_mul_hi_u32 v10, s2, v1
	v_mul_lo_u32 v9, s3, v1
	v_add_u32_e32 v10, v10, v8
	v_mul_lo_u32 v12, s2, v1
	v_add_u32_e32 v13, v10, v9
	v_mul_hi_u32 v8, v1, v12
	v_mul_hi_u32 v11, v1, v13
	v_mul_lo_u32 v10, v1, v13
	v_mov_b32_e32 v9, v2
	v_lshl_add_u64 v[8:9], v[8:9], 0, v[10:11]
	v_mul_hi_u32 v11, v3, v12
	v_mul_lo_u32 v12, v3, v12
	v_add_co_u32_e32 v8, vcc, v8, v12
	v_mul_hi_u32 v10, v3, v13
	s_nop 0
	v_addc_co_u32_e32 v8, vcc, v9, v11, vcc
	v_mov_b32_e32 v9, v2
	s_nop 0
	v_addc_co_u32_e32 v11, vcc, 0, v10, vcc
	v_mul_lo_u32 v10, v3, v13
	v_lshl_add_u64 v[8:9], v[8:9], 0, v[10:11]
	v_add_co_u32_e32 v1, vcc, v1, v8
	v_mul_lo_u32 v10, s2, v1
	s_nop 0
	v_addc_co_u32_e32 v3, vcc, v3, v9, vcc
	v_mul_lo_u32 v8, s2, v3
	v_mul_hi_u32 v9, s2, v1
	v_add_u32_e32 v8, v9, v8
	v_mul_lo_u32 v9, s3, v1
	v_add_u32_e32 v12, v8, v9
	v_mul_hi_u32 v14, v3, v10
	v_mul_lo_u32 v15, v3, v10
	v_mul_hi_u32 v9, v1, v12
	v_mul_lo_u32 v8, v1, v12
	v_mul_hi_u32 v10, v1, v10
	v_mov_b32_e32 v11, v2
	v_lshl_add_u64 v[8:9], v[10:11], 0, v[8:9]
	v_add_co_u32_e32 v8, vcc, v8, v15
	v_mul_hi_u32 v13, v3, v12
	s_nop 0
	v_addc_co_u32_e32 v8, vcc, v9, v14, vcc
	v_mul_lo_u32 v10, v3, v12
	s_nop 0
	v_addc_co_u32_e32 v11, vcc, 0, v13, vcc
	v_mov_b32_e32 v9, v2
	v_lshl_add_u64 v[8:9], v[8:9], 0, v[10:11]
	v_add_co_u32_e32 v1, vcc, v1, v8
	v_mul_hi_u32 v10, v6, v1
	s_nop 0
	v_addc_co_u32_e32 v3, vcc, v3, v9, vcc
	v_mad_u64_u32 v[8:9], s[2:3], v6, v3, 0
	v_mov_b32_e32 v11, v2
	v_lshl_add_u64 v[8:9], v[10:11], 0, v[8:9]
	v_mad_u64_u32 v[12:13], s[2:3], v7, v1, 0
	v_add_co_u32_e32 v1, vcc, v8, v12
	v_mad_u64_u32 v[10:11], s[2:3], v7, v3, 0
	s_nop 0
	v_addc_co_u32_e32 v8, vcc, v9, v13, vcc
	v_mov_b32_e32 v9, v2
	s_nop 0
	v_addc_co_u32_e32 v11, vcc, 0, v11, vcc
	v_lshl_add_u64 v[8:9], v[8:9], 0, v[10:11]
	v_mul_lo_u32 v1, s15, v8
	v_mul_lo_u32 v3, s14, v9
	v_mad_u64_u32 v[10:11], s[2:3], s14, v8, 0
	v_add3_u32 v1, v11, v3, v1
	v_sub_u32_e32 v3, v7, v1
	v_mov_b32_e32 v11, s15
	v_sub_co_u32_e32 v14, vcc, v6, v10
	v_lshl_add_u64 v[12:13], v[8:9], 0, 1
	s_nop 0
	v_subb_co_u32_e64 v3, s[2:3], v3, v11, vcc
	v_subrev_co_u32_e64 v10, s[2:3], s14, v14
	v_subb_co_u32_e32 v1, vcc, v7, v1, vcc
	s_nop 0
	v_subbrev_co_u32_e64 v3, s[2:3], 0, v3, s[2:3]
	v_cmp_le_u32_e64 s[2:3], s15, v3
	v_cmp_le_u32_e32 vcc, s15, v1
	s_nop 0
	v_cndmask_b32_e64 v11, 0, -1, s[2:3]
	v_cmp_le_u32_e64 s[2:3], s14, v10
	s_nop 1
	v_cndmask_b32_e64 v10, 0, -1, s[2:3]
	v_cmp_eq_u32_e64 s[2:3], s15, v3
	s_nop 1
	v_cndmask_b32_e64 v3, v11, v10, s[2:3]
	v_lshl_add_u64 v[10:11], v[8:9], 0, 2
	v_cmp_ne_u32_e64 s[2:3], 0, v3
	s_nop 1
	v_cndmask_b32_e64 v3, v13, v11, s[2:3]
	v_cndmask_b32_e64 v11, 0, -1, vcc
	v_cmp_le_u32_e32 vcc, s14, v14
	s_nop 1
	v_cndmask_b32_e64 v13, 0, -1, vcc
	v_cmp_eq_u32_e32 vcc, s15, v1
	s_nop 1
	v_cndmask_b32_e32 v1, v11, v13, vcc
	v_cmp_ne_u32_e32 vcc, 0, v1
	v_cndmask_b32_e64 v1, v12, v10, s[2:3]
	s_nop 0
	v_cndmask_b32_e32 v9, v9, v3, vcc
	v_cndmask_b32_e32 v8, v8, v1, vcc
.LBB0_4:                                ;   in Loop: Header=BB0_2 Depth=1
	s_andn2_saveexec_b64 s[2:3], s[16:17]
	s_cbranch_execz .LBB0_6
; %bb.5:                                ;   in Loop: Header=BB0_2 Depth=1
	v_cvt_f32_u32_e32 v1, s14
	s_sub_i32 s16, 0, s14
	v_rcp_iflag_f32_e32 v1, v1
	s_nop 0
	v_mul_f32_e32 v1, 0x4f7ffffe, v1
	v_cvt_u32_f32_e32 v1, v1
	v_mul_lo_u32 v3, s16, v1
	v_mul_hi_u32 v3, v1, v3
	v_add_u32_e32 v1, v1, v3
	v_mul_hi_u32 v1, v6, v1
	v_mul_lo_u32 v3, v1, s14
	v_sub_u32_e32 v3, v6, v3
	v_add_u32_e32 v8, 1, v1
	v_subrev_u32_e32 v9, s14, v3
	v_cmp_le_u32_e32 vcc, s14, v3
	s_nop 1
	v_cndmask_b32_e32 v3, v3, v9, vcc
	v_cndmask_b32_e32 v1, v1, v8, vcc
	v_add_u32_e32 v8, 1, v1
	v_cmp_le_u32_e32 vcc, s14, v3
	v_mov_b32_e32 v9, v2
	s_nop 0
	v_cndmask_b32_e32 v8, v1, v8, vcc
.LBB0_6:                                ;   in Loop: Header=BB0_2 Depth=1
	s_or_b64 exec, exec, s[2:3]
	v_mad_u64_u32 v[10:11], s[2:3], v8, s14, 0
	s_load_dwordx2 s[2:3], s[8:9], 0x0
	s_load_dwordx4 s[16:19], s[0:1], 0x0
	v_mul_lo_u32 v1, v9, s14
	v_mul_lo_u32 v3, v8, s15
	v_add3_u32 v1, v11, v3, v1
	v_sub_co_u32_e32 v3, vcc, v6, v10
	s_add_u32 s10, s10, 1
	s_nop 0
	v_subb_co_u32_e32 v1, vcc, v7, v1, vcc
	s_addc_u32 s11, s11, 0
	s_waitcnt lgkmcnt(0)
	v_mul_lo_u32 v1, s2, v1
	v_mul_lo_u32 v6, s3, v3
	v_mad_u64_u32 v[4:5], s[2:3], s2, v3, v[4:5]
	s_add_u32 s8, s8, 8
	v_add3_u32 v5, v6, v5, v1
	s_addc_u32 s9, s9, 0
	v_mov_b64_e32 v[6:7], s[18:19]
	s_add_u32 s12, s12, 8
	v_cmp_ge_u64_e32 vcc, s[10:11], v[6:7]
	s_addc_u32 s13, s13, 0
	s_cbranch_vccnz .LBB0_8
; %bb.7:                                ;   in Loop: Header=BB0_2 Depth=1
	v_mov_b64_e32 v[6:7], v[8:9]
	s_branch .LBB0_2
.LBB0_8:
	s_load_dwordx4 s[8:11], s[0:1], 0x0
                                        ; implicit-def: $vgpr29
                                        ; implicit-def: $vgpr42
                                        ; implicit-def: $vgpr24
                                        ; implicit-def: $vgpr12
                                        ; implicit-def: $vgpr26
                                        ; implicit-def: $vgpr10
                                        ; implicit-def: $vgpr30
                                        ; implicit-def: $vgpr20
                                        ; implicit-def: $vgpr32
                                        ; implicit-def: $vgpr18
                                        ; implicit-def: $vgpr34
                                        ; implicit-def: $vgpr16
                                        ; implicit-def: $vgpr36
                                        ; implicit-def: $vgpr14
                                        ; implicit-def: $vgpr74
                                        ; implicit-def: $vgpr38
                                        ; implicit-def: $vgpr22
                                        ; implicit-def: $vgpr71
                                        ; implicit-def: $vgpr59
                                        ; implicit-def: $vgpr56
                                        ; implicit-def: $vgpr66
                                        ; implicit-def: $vgpr68
                                        ; implicit-def: $vgpr60
                                        ; implicit-def: $vgpr62
                                        ; implicit-def: $vgpr64
                                        ; implicit-def: $vgpr46
                                        ; implicit-def: $vgpr40
                                        ; implicit-def: $vgpr44
                                        ; implicit-def: $vgpr48
                                        ; implicit-def: $vgpr50
                                        ; implicit-def: $vgpr52
                                        ; implicit-def: $vgpr54
	s_waitcnt lgkmcnt(0)
	s_lshl_b64 s[2:3], s[10:11], 3
	s_add_u32 s2, s6, s2
	s_addc_u32 s3, s7, s3
	s_load_dwordx2 s[6:7], s[2:3], 0x0
	s_load_dwordx2 s[8:9], s[0:1], 0x20
	s_waitcnt lgkmcnt(0)
	v_mad_u64_u32 v[2:3], s[0:1], s6, v8, v[4:5]
	v_mul_lo_u32 v1, s6, v9
	v_mul_lo_u32 v6, s7, v8
	s_mov_b32 s0, 0xf0f0f10
	v_add3_u32 v3, v6, v3, v1
	v_mul_hi_u32 v1, v0, s0
	v_cmp_gt_u64_e64 s[6:7], s[8:9], v[8:9]
	v_mul_u32_u24_e32 v1, 17, v1
	v_sub_u32_e32 v0, v0, v1
	v_mov_b32_e32 v5, 0
	v_lshl_add_u64 v[2:3], v[2:3], 3, s[4:5]
	v_mov_b32_e32 v1, 0
	v_writelane_b32 v194, s6, 4
                                        ; implicit-def: $vgpr8
                                        ; implicit-def: $vgpr6
	s_nop 1
	v_writelane_b32 v194, s7, 5
	s_and_saveexec_b64 s[2:3], s[6:7]
	s_cbranch_execz .LBB0_12
; %bb.9:
	v_mov_b32_e32 v1, 0
	v_lshl_add_u64 v[42:43], v[0:1], 3, v[2:3]
	global_load_dwordx2 v[64:65], v[42:43], off
	global_load_dwordx2 v[58:59], v[42:43], off offset:192
	global_load_dwordx2 v[56:57], v[42:43], off offset:384
	;; [unrolled: 1-line block ×16, first 2 shown]
	v_cmp_gt_u32_e64 s[0:1], 7, v0
	v_mov_b32_e32 v5, v1
                                        ; implicit-def: $vgpr7
                                        ; implicit-def: $vgpr23
                                        ; implicit-def: $vgpr15
                                        ; implicit-def: $vgpr37
                                        ; implicit-def: $vgpr17
                                        ; implicit-def: $vgpr35
                                        ; implicit-def: $vgpr19
                                        ; implicit-def: $vgpr33
                                        ; implicit-def: $vgpr21
                                        ; implicit-def: $vgpr31
                                        ; implicit-def: $vgpr11
                                        ; implicit-def: $vgpr27
                                        ; implicit-def: $vgpr13
                                        ; implicit-def: $vgpr25
                                        ; implicit-def: $vgpr9
                                        ; implicit-def: $vgpr28
	s_and_saveexec_b64 s[4:5], s[0:1]
	s_cbranch_execz .LBB0_11
; %bb.10:
	global_load_dwordx2 v[4:5], v[42:43], off offset:136
	global_load_dwordx2 v[22:23], v[42:43], off offset:328
	;; [unrolled: 1-line block ×17, first 2 shown]
	s_waitcnt vmcnt(16)
	v_mov_b32_e32 v1, v4
.LBB0_11:
	s_or_b64 exec, exec, s[4:5]
	s_waitcnt vmcnt(7)
	v_mov_b32_e32 v42, v75
	v_mov_b32_e32 v43, v65
	;; [unrolled: 1-line block ×5, first 2 shown]
	s_waitcnt vmcnt(0)
	v_mov_b32_e32 v63, v76
	v_mov_b32_e32 v65, v77
.LBB0_12:
	s_or_b64 exec, exec, s[2:3]
	v_add_f32_e32 v58, v75, v71
	v_add_f32_e32 v58, v58, v56
	;; [unrolled: 1-line block ×4, first 2 shown]
	s_mov_b32 s6, 0xbf59a7d5
	v_add_f32_e32 v70, v58, v60
	s_mov_b32 s94, 0xbf1a4643
	s_mov_b32 s7, 0xbf06c442
	;; [unrolled: 1-line block ×3, first 2 shown]
	v_pk_add_f32 v[76:77], v[70:71], v[62:63]
	s_mov_b32 s4, s94
	s_mov_b32 s5, s6
	v_sub_f32_e32 v4, v59, v65
	s_mov_b32 s26, s95
	s_mov_b32 s27, s7
	v_writelane_b32 v194, s4, 6
	s_mov_b32 s0, 0xaaaaaaab
	s_mov_b32 s20, 0x3ee437d1
	v_pk_mul_f32 v[78:79], v[76:77], s[4:5] op_sel:[1,0]
	s_mov_b32 s8, 0xbe8c1d8e
	v_mov_b32_e32 v58, v75
	v_pk_fma_f32 v[80:81], v[4:5], s[26:27], v[78:79] op_sel_hi:[0,1,1]
	v_mul_hi_u32 v73, v72, s0
	s_mov_b32 s9, 0xbf763a35
	s_mov_b32 s2, 0x3f65296c
	;; [unrolled: 1-line block ×5, first 2 shown]
	v_writelane_b32 v194, s5, 7
	v_pk_add_f32 v[82:83], v[80:81], v[58:59] op_sel_hi:[1,0]
	v_pk_add_f32 v[80:81], v[38:39], v[56:57]
	s_mov_b32 s28, s19
	s_mov_b32 s29, s2
	v_pk_add_f32 v[92:93], v[56:57], v[38:39] neg_lo:[0,1] neg_hi:[0,1]
	v_writelane_b32 v194, s0, 8
	s_mov_b32 s53, 0x3f6eb680
	s_mov_b32 s92, 0x3dbcf732
	v_pk_mul_f32 v[100:101], v[80:81], s[0:1] op_sel_hi:[0,1]
	v_pk_fma_f32 v[84:85], v[92:93], s[28:29], v[100:101] op_sel:[1,0,0]
	s_mov_b32 s57, 0xbeb8f4ab
	v_pk_add_f32 v[86:87], v[82:83], v[84:85]
	s_mov_b32 s93, 0xbf7ee86f
	s_mov_b32 s38, s53
	;; [unrolled: 1-line block ×3, first 2 shown]
	v_pk_add_f32 v[82:83], v[66:67], v[54:55]
	s_mov_b32 s30, s57
	s_mov_b32 s31, s93
	v_pk_add_f32 v[84:85], v[66:67], v[54:55] neg_lo:[0,1] neg_hi:[0,1]
	v_pk_mul_f32 v[102:103], v[82:83], s[38:39] op_sel_hi:[0,1]
	v_pk_fma_f32 v[88:89], v[84:85], s[30:31], v[102:103] op_sel:[1,0,0]
	s_mov_b32 s48, 0x3f4c4adb
	v_pk_add_f32 v[90:91], v[88:89], v[86:87]
	s_mov_b32 s42, s6
	s_mov_b32 s43, s94
	v_pk_add_f32 v[86:87], v[68:69], v[52:53]
	s_mov_b32 s58, s7
	s_mov_b32 s59, s48
	v_pk_add_f32 v[88:89], v[68:69], v[52:53] neg_lo:[0,1] neg_hi:[0,1]
	v_pk_mul_f32 v[114:115], v[86:87], s[42:43] op_sel_hi:[0,1]
	v_pk_fma_f32 v[94:95], v[88:89], s[58:59], v[114:115] op_sel:[1,0,0]
	s_mov_b32 s55, 0x3f7ee86f
	v_pk_add_f32 v[96:97], v[94:95], v[90:91]
	s_mov_b32 s34, s92
	s_mov_b32 s35, s53
	v_pk_add_f32 v[90:91], v[60:61], v[50:51]
	s_mov_b32 s68, s55
	s_mov_b32 s69, s57
	v_pk_add_f32 v[94:95], v[60:61], v[50:51] neg_lo:[0,1] neg_hi:[0,1]
	v_pk_mul_f32 v[116:117], v[90:91], s[34:35] op_sel_hi:[0,1]
	v_pk_fma_f32 v[98:99], v[94:95], s[68:69], v[116:117] op_sel:[1,0,0]
	s_mov_b32 s96, 0xbf7ba420
	v_pk_add_f32 v[104:105], v[98:99], v[96:97]
	s_mov_b32 s90, 0x3f3d2fb0
	v_mov_b32_e32 v98, v62
	v_mov_b32_e32 v99, v64
	s_mov_b32 s97, 0xbe3c28d5
	s_mov_b32 s91, 0xbf2c7751
	v_pk_add_f32 v[96:97], v[98:99], v[48:49]
	s_mov_b32 s60, s90
	s_mov_b32 s61, s96
	v_pk_add_f32 v[98:99], v[98:99], v[48:49] neg_lo:[0,1] neg_hi:[0,1]
	s_mov_b32 s46, s91
	s_mov_b32 s47, s97
	v_pk_mul_f32 v[118:119], v[96:97], s[60:61] op_sel_hi:[0,1]
	v_pk_fma_f32 v[106:107], v[98:99], s[46:47], v[118:119] op_sel:[1,0,0]
	s_mov_b32 s80, 0x3f06c442
	v_pk_add_f32 v[106:107], v[106:107], v[104:105]
	s_mov_b32 s81, 0x3f2c7751
	s_mov_b32 s40, s96
	s_mov_b32 s41, s90
	v_pk_add_f32 v[104:105], v[46:47], v[44:45]
	s_mov_b32 s44, s97
	s_mov_b32 s45, s81
	v_pk_add_f32 v[110:111], v[46:47], v[44:45] neg_lo:[0,1] neg_hi:[0,1]
	v_pk_mul_f32 v[120:121], v[104:105], s[40:41] op_sel_hi:[0,1]
	v_pk_fma_f32 v[108:109], v[110:111], s[44:45], v[120:121] op_sel:[1,0,0]
	s_mov_b32 s62, s20
	v_pk_add_f32 v[112:113], v[108:109], v[106:107]
	v_mov_b32_e32 v108, v74
	v_mov_b32_e32 v109, v42
	v_pk_add_f32 v[106:107], v[40:41], v[108:109]
	s_mov_b32 s63, s8
	v_pk_add_f32 v[108:109], v[40:41], v[108:109] neg_lo:[0,1] neg_hi:[0,1]
	s_mov_b32 s50, s2
	s_mov_b32 s51, s9
	v_pk_mul_f32 v[122:123], v[106:107], s[62:63] op_sel_hi:[0,1]
	v_pk_fma_f32 v[124:125], v[108:109], s[50:51], v[122:123] op_sel:[1,0,0]
	s_mov_b32 s72, s92
	s_mov_b32 s73, s8
	v_pk_add_f32 v[112:113], v[124:125], v[112:113]
	s_mov_b32 s64, s93
	s_mov_b32 s65, s9
	;; [unrolled: 1-line block ×4, first 2 shown]
	v_pk_mul_f32 v[124:125], v[76:77], s[72:73] op_sel:[1,0]
	s_mov_b32 s36, s97
	s_mov_b32 s37, s80
	v_pk_fma_f32 v[126:127], v[4:5], s[64:65], v[124:125] op_sel_hi:[0,1,1]
	v_pk_mul_f32 v[128:129], v[80:81], s[74:75] op_sel_hi:[0,1]
	v_pk_add_f32 v[126:127], v[126:127], v[58:59] op_sel_hi:[1,0]
	v_pk_fma_f32 v[130:131], v[92:93], s[36:37], v[128:129] op_sel:[1,0,0]
	s_mov_b32 s76, s8
	s_mov_b32 s77, s90
	v_pk_add_f32 v[126:127], v[126:127], v[130:131]
	s_mov_b32 s66, s19
	s_mov_b32 s67, s81
	v_pk_mul_f32 v[130:131], v[82:83], s[76:77] op_sel_hi:[0,1]
	v_pk_fma_f32 v[132:133], v[84:85], s[66:67], v[130:131] op_sel:[1,0,0]
	s_mov_b32 s88, 0x3eb8f4ab
	s_mov_b32 s21, 0xbf65296c
	;; [unrolled: 1-line block ×4, first 2 shown]
	v_pk_add_f32 v[126:127], v[132:133], v[126:127]
	s_mov_b32 s82, s88
	s_mov_b32 s83, s21
	v_pk_mul_f32 v[132:133], v[86:87], s[78:79] op_sel_hi:[0,1]
	v_pk_fma_f32 v[134:135], v[88:89], s[82:83], v[132:133] op_sel:[1,0,0]
	s_mov_b32 s14, s20
	s_mov_b32 s15, s96
	v_writelane_b32 v194, s1, 9
	s_movk_i32 s0, 0x44
	v_pk_add_f32 v[126:127], v[134:135], v[126:127]
	s_mov_b32 s84, s21
	s_mov_b32 s85, s97
	v_pk_mul_f32 v[134:135], v[90:91], s[14:15] op_sel_hi:[0,1]
	v_mad_u32_u24 v177, v0, s0, 0
	v_pk_fma_f32 v[136:137], v[94:95], s[84:85], v[134:135] op_sel:[1,0,0]
	s_mov_b32 s0, s6
	s_mov_b32 s1, s92
	v_pk_add_f32 v[126:127], v[136:137], v[126:127]
	s_mov_b32 s54, s7
	v_writelane_b32 v194, s0, 10
	s_mov_b32 s24, s94
	s_mov_b32 s25, s53
	v_pk_mul_f32 v[136:137], v[96:97], s[0:1] op_sel_hi:[0,1]
	v_pk_fma_f32 v[138:139], v[98:99], s[54:55], v[136:137] op_sel:[1,0,0]
	v_writelane_b32 v194, s1, 11
	v_pk_add_f32 v[126:127], v[138:139], v[126:127]
	s_mov_b32 s49, s57
	v_pk_mul_f32 v[138:139], v[104:105], s[24:25] op_sel_hi:[0,1]
	s_mov_b32 s0, s90
	s_mov_b32 s1, s94
	v_pk_fma_f32 v[140:141], v[110:111], s[48:49], v[138:139] op_sel:[1,0,0]
	v_writelane_b32 v194, s0, 12
	v_lshrrev_b32_e32 v73, 1, v73
	v_pk_add_f32 v[126:127], v[140:141], v[126:127]
	s_mov_b32 s86, s81
	s_mov_b32 s87, s95
	v_writelane_b32 v194, s1, 13
	v_pk_mul_f32 v[140:141], v[106:107], s[0:1] op_sel_hi:[0,1]
	s_mov_b32 s0, s90
	s_mov_b32 s1, s20
	v_lshl_add_u32 v73, v73, 1, v73
	v_pk_fma_f32 v[142:143], v[108:109], s[86:87], v[140:141] op_sel:[1,0,0]
	v_writelane_b32 v194, s0, 14
	v_sub_u32_e32 v72, v72, v73
	v_pk_add_f32 v[142:143], v[142:143], v[126:127]
	s_mov_b32 s12, s91
	s_mov_b32 s13, s21
	;; [unrolled: 1-line block ×4, first 2 shown]
	v_writelane_b32 v194, s1, 15
	v_pk_mul_f32 v[144:145], v[76:77], s[0:1] op_sel:[1,0]
	v_mul_u32_u24_e32 v127, 0x198, v72
	s_mov_b32 s22, s93
	s_mov_b32 s23, s95
	v_pk_fma_f32 v[146:147], v[4:5], s[12:13], v[144:145] op_sel_hi:[0,1,1]
	v_writelane_b32 v194, s4, 16
	s_mov_b32 s10, s94
	s_mov_b32 s11, s96
	v_pk_mul_f32 v[148:149], v[80:81], s[4:5] op_sel_hi:[0,1]
	v_lshl_add_u32 v126, v127, 2, v177
	v_pk_fma_f32 v[150:151], v[92:93], s[22:23], v[148:149] op_sel:[1,0,0]
	s_mov_b32 s17, 0x3e3c28d5
	s_mov_b32 s16, s95
	v_pk_mul_f32 v[152:153], v[82:83], s[10:11] op_sel_hi:[0,1]
	s_mov_b32 s70, s96
	s_mov_b32 s71, s8
	ds_write2_b32 v126, v113, v112 offset0:10 offset1:11
	v_pk_add_f32 v[112:113], v[146:147], v[58:59] op_sel_hi:[1,0]
	v_pk_fma_f32 v[154:155], v[84:85], s[16:17], v[152:153] op_sel:[1,0,0]
	s_mov_b32 s18, s97
	v_pk_mul_f32 v[156:157], v[86:87], s[70:71] op_sel_hi:[0,1]
	s_mov_b32 s98, s6
	s_mov_b32 s99, s90
	v_pk_add_f32 v[112:113], v[112:113], v[150:151]
	v_pk_fma_f32 v[158:159], v[88:89], s[18:19], v[156:157] op_sel:[1,0,0]
	v_pk_mul_f32 v[160:161], v[90:91], s[98:99] op_sel_hi:[0,1]
	s_mov_b32 s52, s8
	v_pk_add_f32 v[112:113], v[154:155], v[112:113]
	v_pk_fma_f32 v[162:163], v[94:95], s[80:81], v[160:161] op_sel:[1,0,0]
	s_mov_b32 s56, s19
	v_pk_mul_f32 v[164:165], v[96:97], s[52:53] op_sel_hi:[0,1]
	s_mov_b32 s0, s20
	s_mov_b32 s1, s92
	v_pk_add_f32 v[112:113], v[158:159], v[112:113]
	v_writelane_b32 v194, s5, 17
	v_pk_fma_f32 v[166:167], v[98:99], s[56:57], v[164:165] op_sel:[1,0,0]
	s_mov_b32 s3, s93
	v_pk_mul_f32 v[168:169], v[104:105], s[0:1] op_sel_hi:[0,1]
	s_mov_b32 s4, s53
	s_mov_b32 s5, s6
	v_pk_add_f32 v[112:113], v[162:163], v[112:113]
	v_pk_fma_f32 v[170:171], v[110:111], s[2:3], v[168:169] op_sel:[1,0,0]
	s_mov_b32 s89, s7
	v_pk_mul_f32 v[172:173], v[106:107], s[4:5] op_sel_hi:[0,1]
	v_pk_add_f32 v[112:113], v[166:167], v[112:113]
	v_pk_fma_f32 v[174:175], v[108:109], s[88:89], v[172:173] op_sel:[1,0,0]
	v_mov_b32_e32 v72, v82
	v_mov_b32_e32 v73, v85
	v_pk_add_f32 v[112:113], v[170:171], v[112:113]
	v_mov_b32_e32 v70, v143
	v_mov_b32_e32 v176, v80
	;; [unrolled: 1-line block ×4, first 2 shown]
	v_pk_mul_f32 v[142:143], v[72:73], s[20:21]
	v_pk_add_f32 v[162:163], v[174:175], v[112:113]
	v_mov_b32_e32 v112, v96
	v_mov_b32_e32 v113, v99
	v_pk_mul_f32 v[178:179], v[176:177], s[90:91]
	ds_write2_b32 v126, v70, v81 offset0:12 offset1:13
	v_mov_b32_e32 v81, v142
	v_pk_mul_f32 v[170:171], v[112:113], s[94:95]
	v_mov_b32_e32 v83, v178
	v_pk_fma_f32 v[72:73], v[72:73], s[20:21], v[80:81] neg_lo:[1,0,0] neg_hi:[1,0,0]
	v_mov_b32_e32 v81, v170
	v_mov_b32_e32 v174, v104
	;; [unrolled: 1-line block ×3, first 2 shown]
	v_pk_fma_f32 v[166:167], v[176:177], s[90:91], v[82:83] neg_lo:[1,0,0] neg_hi:[1,0,0]
	v_pk_mul_f32 v[176:177], v[174:175], s[6:7]
	v_pk_fma_f32 v[180:181], v[112:113], s[94:95], v[80:81] neg_lo:[1,0,0] neg_hi:[1,0,0]
	v_mov_b32_e32 v112, v106
	v_mov_b32_e32 v113, v109
	;; [unrolled: 1-line block ×3, first 2 shown]
	v_pk_mul_f32 v[182:183], v[112:113], s[96:97]
	v_pk_fma_f32 v[174:175], v[174:175], s[6:7], v[80:81] neg_lo:[1,0,0] neg_hi:[1,0,0]
	v_mov_b32_e32 v81, v182
	v_pk_fma_f32 v[184:185], v[112:113], s[96:97], v[80:81] neg_lo:[1,0,0] neg_hi:[1,0,0]
	v_mov_b32_e32 v113, 0x3f6eb680
	v_mov_b32_e32 v112, v46
	v_mul_f32_e32 v187, 0xbeb8f4ab, v4
	v_mov_b32_e32 v186, v40
	v_pk_add_f32 v[188:189], v[76:77], v[46:47]
	v_pk_fma_f32 v[186:187], v[76:77], v[112:113], v[186:187] neg_lo:[0,0,1] neg_hi:[0,0,1]
	v_pk_add_f32 v[188:189], v[188:189], v[40:41]
	v_mov_b32_e32 v146, v86
	v_mov_b32_e32 v147, v89
	;; [unrolled: 1-line block ×3, first 2 shown]
	v_pk_mul_f32 v[186:187], v[76:77], v[112:113]
	v_pk_mul_f32 v[150:151], v[146:147], s[92:93]
	v_mov_b32_e32 v154, v90
	v_mov_b32_e32 v155, v95
	v_fmac_f32_e32 v187, 0xbeb8f4ab, v4
	v_mov_b32_e32 v87, v150
	v_pk_mul_f32 v[158:159], v[154:155], s[8:9]
	v_add_f32_e32 v46, v187, v75
	v_pk_add_f32 v[74:75], v[188:189], v[74:75]
	v_mov_b32_e32 v166, v44
	v_mov_b32_e32 v91, v158
	v_pk_fma_f32 v[146:147], v[146:147], s[92:93], v[86:87] neg_lo:[1,0,0] neg_hi:[1,0,0]
	v_pk_add_f32 v[74:75], v[74:75], v[166:167]
	v_mov_b32_e32 v72, v48
	v_pk_fma_f32 v[154:155], v[154:155], s[8:9], v[90:91] neg_lo:[1,0,0] neg_hi:[1,0,0]
	v_pk_add_f32 v[72:73], v[74:75], v[72:73]
	v_mov_b32_e32 v146, v50
	v_pk_add_f32 v[72:73], v[72:73], v[146:147]
	v_mov_b32_e32 v154, v52
	;; [unrolled: 2-line block ×5, first 2 shown]
	v_pk_add_f32 v[72:73], v[72:73], v[184:185]
	v_pk_fma_f32 v[74:75], v[4:5], s[12:13], v[144:145] op_sel_hi:[0,1,1] neg_lo:[1,0,0] neg_hi:[1,0,0]
	ds_write2_b32 v126, v72, v73 offset1:1
	v_pk_fma_f32 v[72:73], v[92:93], s[22:23], v[148:149] op_sel:[1,0,0] neg_lo:[1,0,0] neg_hi:[1,0,0]
	v_pk_add_f32 v[74:75], v[74:75], v[58:59] op_sel_hi:[1,0]
	v_writelane_b32 v194, s36, 18
	v_pk_add_f32 v[72:73], v[74:75], v[72:73]
	v_pk_fma_f32 v[74:75], v[84:85], s[16:17], v[152:153] op_sel:[1,0,0] neg_lo:[1,0,0] neg_hi:[1,0,0]
	v_writelane_b32 v194, s37, 19
	v_pk_add_f32 v[72:73], v[74:75], v[72:73]
	v_pk_fma_f32 v[74:75], v[88:89], s[18:19], v[156:157] op_sel:[1,0,0] neg_lo:[1,0,0] neg_hi:[1,0,0]
	;; [unrolled: 3-line block ×5, first 2 shown]
	v_mul_f32_e32 v38, 0x3f6eb680, v80
	v_pk_add_f32 v[72:73], v[74:75], v[72:73]
	v_pk_fma_f32 v[74:75], v[108:109], s[88:89], v[172:173] op_sel:[1,0,0] neg_lo:[1,0,0] neg_hi:[1,0,0]
	v_mul_f32_e32 v40, 0x3eb8f4ab, v93
	v_pk_add_f32 v[72:73], v[74:75], v[72:73]
	v_pk_fma_f32 v[74:75], v[4:5], s[64:65], v[124:125] op_sel_hi:[0,1,1] neg_lo:[1,0,0] neg_hi:[1,0,0]
	ds_write2_b32 v126, v72, v73 offset0:2 offset1:3
	v_pk_fma_f32 v[72:73], v[92:93], s[36:37], v[128:129] op_sel:[1,0,0] neg_lo:[1,0,0] neg_hi:[1,0,0]
	v_pk_add_f32 v[74:75], v[74:75], v[58:59] op_sel_hi:[1,0]
	v_add_f32_e32 v44, v159, v158
	v_pk_add_f32 v[72:73], v[74:75], v[72:73]
	v_pk_fma_f32 v[74:75], v[84:85], s[66:67], v[130:131] op_sel:[1,0,0] neg_lo:[1,0,0] neg_hi:[1,0,0]
	v_add_f32_e32 v56, v171, v170
	v_pk_add_f32 v[72:73], v[74:75], v[72:73]
	v_pk_fma_f32 v[74:75], v[88:89], s[82:83], v[132:133] op_sel:[1,0,0] neg_lo:[1,0,0] neg_hi:[1,0,0]
	;; [unrolled: 3-line block ×3, first 2 shown]
	v_cmp_gt_u32_e32 vcc, 7, v0
	v_pk_add_f32 v[72:73], v[74:75], v[72:73]
	v_pk_fma_f32 v[74:75], v[98:99], s[54:55], v[136:137] op_sel:[1,0,0] neg_lo:[1,0,0] neg_hi:[1,0,0]
	ds_write2_b32 v126, v163, v162 offset0:14 offset1:15
	v_pk_add_f32 v[72:73], v[74:75], v[72:73]
	v_pk_fma_f32 v[74:75], v[110:111], s[48:49], v[138:139] op_sel:[1,0,0] neg_lo:[1,0,0] neg_hi:[1,0,0]
	v_writelane_b32 v194, s27, 23
	v_pk_add_f32 v[72:73], v[74:75], v[72:73]
	v_pk_fma_f32 v[74:75], v[108:109], s[86:87], v[140:141] op_sel:[1,0,0] neg_lo:[1,0,0] neg_hi:[1,0,0]
	s_nop 0
	v_pk_add_f32 v[72:73], v[74:75], v[72:73]
	v_pk_fma_f32 v[74:75], v[4:5], s[26:27], v[78:79] op_sel_hi:[0,1,1] neg_lo:[1,0,0] neg_hi:[1,0,0]
	ds_write2_b32 v126, v72, v73 offset0:4 offset1:5
	v_pk_fma_f32 v[72:73], v[92:93], s[28:29], v[100:101] op_sel:[1,0,0] neg_lo:[1,0,0] neg_hi:[1,0,0]
	v_pk_add_f32 v[74:75], v[74:75], v[58:59] op_sel_hi:[1,0]
	v_mul_f32_e32 v4, 0xbe3c28d5, v4
	v_pk_add_f32 v[72:73], v[74:75], v[72:73]
	v_pk_fma_f32 v[74:75], v[84:85], s[30:31], v[102:103] op_sel:[1,0,0] neg_lo:[1,0,0] neg_hi:[1,0,0]
	v_pk_add_f32 v[100:101], v[36:37], v[14:15] neg_lo:[0,1] neg_hi:[0,1]
	v_pk_add_f32 v[72:73], v[74:75], v[72:73]
	v_pk_fma_f32 v[74:75], v[88:89], s[58:59], v[114:115] op_sel:[1,0,0] neg_lo:[1,0,0] neg_hi:[1,0,0]
	v_pk_add_f32 v[102:103], v[34:35], v[16:17] neg_lo:[0,1] neg_hi:[0,1]
	v_pk_add_f32 v[72:73], v[74:75], v[72:73]
	v_pk_fma_f32 v[74:75], v[94:95], s[68:69], v[116:117] op_sel:[1,0,0] neg_lo:[1,0,0] neg_hi:[1,0,0]
	s_nop 0
	v_pk_add_f32 v[72:73], v[74:75], v[72:73]
	v_pk_fma_f32 v[74:75], v[98:99], s[46:47], v[118:119] op_sel:[1,0,0] neg_lo:[1,0,0] neg_hi:[1,0,0]
	s_nop 0
	;; [unrolled: 3-line block ×4, first 2 shown]
	v_pk_add_f32 v[72:73], v[74:75], v[72:73]
	ds_write2_b32 v126, v72, v73 offset0:6 offset1:7
	v_pk_add_f32 v[72:73], v[38:39], v[40:41] neg_lo:[0,1] neg_hi:[0,1]
	v_pk_add_f32 v[74:75], v[38:39], v[40:41]
	v_mul_f32_e32 v38, 0xbf59a7d5, v82
	v_mul_f32_e32 v40, 0xbf06c442, v85
	v_mov_b32_e32 v73, v74
	v_pk_add_f32 v[74:75], v[38:39], v[40:41] neg_lo:[0,1] neg_hi:[0,1]
	v_pk_add_f32 v[78:79], v[38:39], v[40:41]
	v_mul_f32_e32 v38, 0x3f3d2fb0, v86
	v_mul_f32_e32 v40, 0x3f2c7751, v89
	v_mov_b32_e32 v75, v78
	;; [unrolled: 5-line block ×6, first 2 shown]
	v_pk_add_f32 v[86:87], v[38:39], v[40:41] neg_lo:[0,1] neg_hi:[0,1]
	v_pk_add_f32 v[88:89], v[38:39], v[40:41]
	v_mul_f32_e32 v38, 0xbf7ba420, v77
	v_mov_b32_e32 v87, v88
	v_pk_add_f32 v[76:77], v[38:39], v[4:5] neg_lo:[0,1] neg_hi:[0,1]
	v_pk_add_f32 v[88:89], v[38:39], v[4:5]
	v_add_f32_e32 v4, v179, v178
	v_mov_b32_e32 v77, v88
	v_pk_add_f32 v[76:77], v[76:77], v[58:59] op_sel_hi:[1,0]
	v_add_f32_e32 v38, v143, v142
	v_pk_add_f32 v[72:73], v[76:77], v[72:73]
	v_add_f32_e32 v4, v46, v4
	v_pk_add_f32 v[72:73], v[74:75], v[72:73]
	;; [unrolled: 2-line block ×6, first 2 shown]
	v_add_f32_e32 v58, v177, v176
	v_add_f32_e32 v4, v56, v4
	v_pk_add_f32 v[72:73], v[86:87], v[72:73]
	v_add_f32_e32 v4, v58, v4
	ds_write2_b32 v126, v72, v73 offset0:8 offset1:9
	v_pk_add_f32 v[98:99], v[22:23], v[6:7] neg_lo:[0,1] neg_hi:[0,1]
	v_pk_add_f32 v[72:73], v[36:37], v[14:15]
	v_pk_add_f32 v[78:79], v[34:35], v[16:17]
	v_add_f32_e32 v4, v70, v4
	v_pk_add_f32 v[82:83], v[32:33], v[18:19]
	v_pk_add_f32 v[96:97], v[32:33], v[18:19] neg_lo:[0,1] neg_hi:[0,1]
	v_pk_add_f32 v[84:85], v[30:31], v[20:21]
	v_pk_add_f32 v[94:95], v[30:31], v[20:21] neg_lo:[0,1] neg_hi:[0,1]
	;; [unrolled: 2-line block ×5, first 2 shown]
	ds_write_b32 v126, v4 offset:64
	s_and_saveexec_b64 s[26:27], vcc
	s_cbranch_execz .LBB0_14
; %bb.13:
	v_mov_b32_e32 v116, v72
	v_mov_b32_e32 v117, v101
	;; [unrolled: 1-line block ×4, first 2 shown]
	v_pk_mul_f32 v[140:141], v[116:117], s[90:91]
	v_mul_f32_e32 v128, 0x3ee437d1, v86
	v_pk_mul_f32 v[142:143], v[118:119], s[20:21]
	v_mov_b32_e32 v129, v140
	v_mov_b32_e32 v112, v1
	v_add_f32_e32 v135, v143, v142
	v_pk_fma_f32 v[116:117], v[116:117], s[90:91], v[128:129] neg_lo:[1,0,0] neg_hi:[1,0,0]
	v_mov_b32_e32 v129, v142
	v_pk_add_f32 v[142:143], v[112:113], v[22:23]
	v_mov_b32_e32 v120, v82
	v_pk_add_f32 v[142:143], v[142:143], v[36:37]
	;; [unrolled: 2-line block ×3, first 2 shown]
	v_pk_mul_f32 v[144:145], v[120:121], s[92:93]
	v_pk_add_f32 v[142:143], v[142:143], v[32:33]
	v_add_f32_e32 v137, v145, v144
	v_pk_add_f32 v[142:143], v[142:143], v[30:31]
	v_pk_fma_f32 v[118:119], v[118:119], s[20:21], v[128:129] neg_lo:[1,0,0] neg_hi:[1,0,0]
	v_mov_b32_e32 v129, v144
	v_mov_b32_e32 v143, v22
	;; [unrolled: 1-line block ×4, first 2 shown]
	v_pk_add_f32 v[142:143], v[142:143], v[144:145]
	v_mov_b32_e32 v112, v24
	v_pk_add_f32 v[144:145], v[142:143], v[24:25]
	v_mul_f32_e32 v24, 0x3f6eb680, v143
	v_fmac_f32_e32 v24, 0xbeb8f4ab, v99
	v_mov_b32_e32 v115, v1
	v_add_f32_e32 v131, v141, v140
	v_add_f32_e32 v1, v1, v24
	v_mov_b32_e32 v122, v84
	v_mov_b32_e32 v123, v95
	v_add_f32_e32 v1, v1, v131
	v_pk_mul_f32 v[146:147], v[122:123], s[8:9]
	v_add_f32_e32 v1, v1, v135
	v_add_f32_e32 v138, v147, v146
	;; [unrolled: 1-line block ×3, first 2 shown]
	v_mul_f32_e32 v139, 0xbeb8f4ab, v99
	v_add_f32_e32 v1, v1, v138
	v_mov_b32_e32 v138, v8
	v_pk_add_f32 v[144:145], v[144:145], v[8:9]
	v_pk_fma_f32 v[138:139], v[142:143], v[112:113], v[138:139] neg_lo:[0,0,1] neg_hi:[0,0,1]
	v_mov_b32_e32 v114, v28
	v_mov_b32_e32 v145, v139
	;; [unrolled: 1-line block ×4, first 2 shown]
	v_pk_add_f32 v[138:139], v[144:145], v[114:115]
	v_mov_b32_e32 v116, v12
	v_mov_b32_e32 v132, v80
	;; [unrolled: 1-line block ×3, first 2 shown]
	v_pk_mul_f32 v[148:149], v[124:125], s[94:95]
	v_pk_fma_f32 v[120:121], v[120:121], s[92:93], v[128:129] neg_lo:[1,0,0] neg_hi:[1,0,0]
	v_mov_b32_e32 v129, v146
	v_pk_add_f32 v[116:117], v[116:117], v[138:139]
	v_mov_b32_e32 v118, v10
	v_pk_mul_f32 v[150:151], v[132:133], s[6:7]
	v_mov_b32_e32 v152, v74
	v_mov_b32_e32 v153, v77
	v_pk_fma_f32 v[122:123], v[122:123], s[8:9], v[128:129] neg_lo:[1,0,0] neg_hi:[1,0,0]
	v_mov_b32_e32 v129, v148
	v_pk_add_f32 v[116:117], v[118:119], v[116:117]
	v_mov_b32_e32 v120, v20
	v_pk_mul_f32 v[158:159], v[152:153], s[96:97]
	v_pk_fma_f32 v[124:125], v[124:125], s[94:95], v[128:129] neg_lo:[1,0,0] neg_hi:[1,0,0]
	v_mov_b32_e32 v129, v150
	v_pk_add_f32 v[116:117], v[120:121], v[116:117]
	v_mov_b32_e32 v122, v18
	v_pk_fma_f32 v[132:133], v[132:133], s[6:7], v[128:129] neg_lo:[1,0,0] neg_hi:[1,0,0]
	v_mov_b32_e32 v129, v158
	v_pk_add_f32 v[116:117], v[122:123], v[116:117]
	v_mov_b32_e32 v124, v16
	v_pk_fma_f32 v[140:141], v[152:153], s[96:97], v[128:129] neg_lo:[1,0,0] neg_hi:[1,0,0]
	v_pk_add_f32 v[116:117], v[124:125], v[116:117]
	v_mov_b32_e32 v132, v14
	v_pk_add_f32 v[116:117], v[132:133], v[116:117]
	v_mov_b32_e32 v140, v6
	v_readlane_b32 s8, v194, 16
	v_add_u32_e32 v129, 0x484, v126
	v_pk_add_f32 v[116:117], v[140:141], v[116:117]
	v_readlane_b32 s9, v194, 17
	v_add_f32_e32 v147, v149, v148
	ds_write2_b32 v129, v116, v117 offset1:1
	v_pk_mul_f32 v[116:117], v[72:73], s[8:9] op_sel_hi:[0,1]
	s_mov_b32 s8, 0x3f06c442
	v_add_f32_e32 v149, v151, v150
	v_add_f32_e32 v1, v1, v147
	v_pk_mul_f32 v[122:123], v[84:85], s[98:99] op_sel_hi:[0,1]
	s_mov_b32 s9, 0x3f2c7751
	v_add_f32_e32 v1, v1, v149
	v_pk_fma_f32 v[148:149], v[94:95], s[8:9], v[122:123] op_sel:[1,0,0] neg_lo:[1,0,0] neg_hi:[1,0,0]
	v_readlane_b32 s8, v194, 14
	v_readlane_b32 s9, v194, 15
	v_pk_mul_f32 v[118:119], v[78:79], s[10:11] op_sel_hi:[0,1]
	v_pk_fma_f32 v[140:141], v[100:101], s[22:23], v[116:117] op_sel:[1,0,0] neg_lo:[1,0,0] neg_hi:[1,0,0]
	v_pk_mul_f32 v[160:161], v[142:143], s[8:9] op_sel:[1,0]
	v_pk_mul_f32 v[120:121], v[82:83], s[70:71] op_sel_hi:[0,1]
	v_pk_fma_f32 v[162:163], v[98:99], s[12:13], v[160:161] op_sel:[1,0,0] neg_lo:[1,0,0] neg_hi:[1,0,0]
	v_pk_fma_f32 v[144:145], v[102:103], s[16:17], v[118:119] op_sel:[1,0,0] neg_lo:[1,0,0] neg_hi:[1,0,0]
	v_pk_add_f32 v[162:163], v[114:115], v[162:163] op_sel:[1,0]
	v_pk_fma_f32 v[146:147], v[96:97], s[18:19], v[120:121] op_sel:[1,0,0] neg_lo:[1,0,0] neg_hi:[1,0,0]
	v_pk_add_f32 v[140:141], v[162:163], v[140:141]
	v_add_f32_e32 v151, v159, v158
	v_pk_add_f32 v[140:141], v[140:141], v[144:145]
	v_pk_mul_f32 v[124:125], v[86:87], s[52:53] op_sel_hi:[0,1]
	v_pk_add_f32 v[140:141], v[140:141], v[146:147]
	v_add_f32_e32 v24, v1, v151
	v_pk_mul_f32 v[132:133], v[80:81], s[0:1] op_sel_hi:[0,1]
	v_pk_fma_f32 v[150:151], v[90:91], s[56:57], v[124:125] op_sel:[1,0,0] neg_lo:[1,0,0] neg_hi:[1,0,0]
	v_pk_add_f32 v[140:141], v[140:141], v[148:149]
	v_pk_mul_f32 v[138:139], v[74:75], s[4:5] op_sel_hi:[0,1]
	v_pk_fma_f32 v[152:153], v[88:89], s[2:3], v[132:133] op_sel:[1,0,0] neg_lo:[1,0,0] neg_hi:[1,0,0]
	v_pk_add_f32 v[140:141], v[140:141], v[150:151]
	v_pk_fma_f32 v[158:159], v[76:77], s[88:89], v[138:139] op_sel:[1,0,0] neg_lo:[1,0,0] neg_hi:[1,0,0]
	v_pk_add_f32 v[140:141], v[140:141], v[152:153]
	v_add_u32_e32 v1, 0x48c, v126
	v_pk_add_f32 v[140:141], v[140:141], v[158:159]
	v_pk_mul_f32 v[148:149], v[84:85], s[14:15] op_sel_hi:[0,1]
	v_pk_mul_f32 v[152:153], v[80:81], s[24:25] op_sel_hi:[0,1]
	s_mov_b64 s[80:81], s[24:25]
	s_mov_b64 s[24:25], s[14:15]
	;; [unrolled: 1-line block ×3, first 2 shown]
	v_readlane_b32 s64, v194, 18
	v_pk_mul_f32 v[176:177], v[142:143], s[72:73] op_sel:[1,0]
	ds_write2_b32 v1, v140, v141 offset1:1
	v_pk_mul_f32 v[140:141], v[72:73], s[74:75] op_sel_hi:[0,1]
	v_readlane_b32 s65, v194, 19
	v_pk_fma_f32 v[178:179], v[98:99], s[14:15], v[176:177] op_sel:[1,0,0] neg_lo:[1,0,0] neg_hi:[1,0,0]
	v_pk_mul_f32 v[144:145], v[78:79], s[76:77] op_sel_hi:[0,1]
	v_pk_fma_f32 v[162:163], v[100:101], s[64:65], v[140:141] op_sel:[1,0,0] neg_lo:[1,0,0] neg_hi:[1,0,0]
	v_pk_add_f32 v[178:179], v[114:115], v[178:179] op_sel:[1,0]
	v_pk_mul_f32 v[146:147], v[82:83], s[78:79] op_sel_hi:[0,1]
	v_readlane_b32 s8, v194, 10
	v_pk_fma_f32 v[164:165], v[102:103], s[66:67], v[144:145] op_sel:[1,0,0] neg_lo:[1,0,0] neg_hi:[1,0,0]
	v_pk_add_f32 v[162:163], v[178:179], v[162:163]
	v_readlane_b32 s9, v194, 11
	v_pk_fma_f32 v[166:167], v[96:97], s[82:83], v[146:147] op_sel:[1,0,0] neg_lo:[1,0,0] neg_hi:[1,0,0]
	v_pk_add_f32 v[162:163], v[162:163], v[164:165]
	v_pk_mul_f32 v[150:151], v[86:87], s[8:9] op_sel_hi:[0,1]
	v_readlane_b32 s8, v194, 12
	v_pk_fma_f32 v[168:169], v[94:95], s[84:85], v[148:149] op_sel:[1,0,0] neg_lo:[1,0,0] neg_hi:[1,0,0]
	v_pk_add_f32 v[162:163], v[162:163], v[166:167]
	v_readlane_b32 s9, v194, 13
	v_pk_fma_f32 v[170:171], v[90:91], s[54:55], v[150:151] op_sel:[1,0,0] neg_lo:[1,0,0] neg_hi:[1,0,0]
	v_pk_add_f32 v[162:163], v[162:163], v[168:169]
	v_pk_mul_f32 v[158:159], v[74:75], s[8:9] op_sel_hi:[0,1]
	v_pk_fma_f32 v[172:173], v[88:89], s[48:49], v[152:153] op_sel:[1,0,0] neg_lo:[1,0,0] neg_hi:[1,0,0]
	v_pk_add_f32 v[162:163], v[162:163], v[170:171]
	v_pk_fma_f32 v[174:175], v[76:77], s[86:87], v[158:159] op_sel:[1,0,0] neg_lo:[1,0,0] neg_hi:[1,0,0]
	v_pk_add_f32 v[162:163], v[162:163], v[172:173]
	v_readlane_b32 s28, v194, 8
	v_add_u32_e32 v1, 0x494, v126
	v_pk_add_f32 v[162:163], v[162:163], v[174:175]
	v_readlane_b32 s29, v194, 9
	ds_write2_b32 v1, v162, v163 offset1:1
	v_mul_f32_e32 v26, 0xbf7ba420, v143
	v_pk_mul_f32 v[162:163], v[72:73], s[28:29] op_sel_hi:[0,1]
	v_readlane_b32 s28, v194, 6
	v_readlane_b32 s29, v194, 7
	;; [unrolled: 1-line block ×4, first 2 shown]
	v_pk_mul_f32 v[142:143], v[142:143], s[28:29] op_sel:[1,0]
	v_readlane_b32 s28, v194, 22
	v_readlane_b32 s29, v194, 23
	v_pk_mul_f32 v[164:165], v[78:79], s[38:39] op_sel_hi:[0,1]
	v_pk_fma_f32 v[178:179], v[100:101], s[36:37], v[162:163] op_sel:[1,0,0] neg_lo:[1,0,0] neg_hi:[1,0,0]
	v_pk_fma_f32 v[192:193], v[98:99], s[28:29], v[142:143] op_sel:[1,0,0] neg_lo:[1,0,0] neg_hi:[1,0,0]
	v_pk_mul_f32 v[166:167], v[82:83], s[42:43] op_sel_hi:[0,1]
	v_pk_add_f32 v[192:193], v[114:115], v[192:193] op_sel:[1,0]
	v_pk_fma_f32 v[180:181], v[102:103], s[30:31], v[164:165] op_sel:[1,0,0] neg_lo:[1,0,0] neg_hi:[1,0,0]
	v_pk_add_f32 v[178:179], v[192:193], v[178:179]
	v_pk_mul_f32 v[168:169], v[84:85], s[34:35] op_sel_hi:[0,1]
	v_pk_fma_f32 v[182:183], v[96:97], s[58:59], v[166:167] op_sel:[1,0,0] neg_lo:[1,0,0] neg_hi:[1,0,0]
	v_pk_add_f32 v[178:179], v[178:179], v[180:181]
	v_pk_mul_f32 v[170:171], v[86:87], s[60:61] op_sel_hi:[0,1]
	;; [unrolled: 3-line block ×4, first 2 shown]
	v_pk_fma_f32 v[188:189], v[88:89], s[44:45], v[172:173] op_sel:[1,0,0] neg_lo:[1,0,0] neg_hi:[1,0,0]
	v_pk_add_f32 v[178:179], v[178:179], v[186:187]
	v_pk_fma_f32 v[190:191], v[76:77], s[50:51], v[174:175] op_sel:[1,0,0] neg_lo:[1,0,0] neg_hi:[1,0,0]
	v_pk_add_f32 v[178:179], v[178:179], v[188:189]
	v_mul_f32_e32 v28, 0x3f6eb680, v72
	v_mul_f32_e32 v38, 0x3eb8f4ab, v101
	v_add_u32_e32 v1, 0x49c, v126
	v_pk_add_f32 v[178:179], v[178:179], v[190:191]
	v_mul_f32_e32 v40, 0xbf59a7d5, v78
	v_mul_f32_e32 v44, 0xbf06c442, v103
	ds_write2_b32 v1, v178, v179 offset1:1
	v_pk_add_f32 v[178:179], v[28:29], v[38:39] neg_lo:[0,1] neg_hi:[0,1]
	v_pk_add_f32 v[180:181], v[28:29], v[38:39]
	v_mul_f32_e32 v46, 0x3f3d2fb0, v82
	v_mul_f32_e32 v56, 0x3f2c7751, v97
	v_mov_b32_e32 v179, v180
	v_pk_add_f32 v[180:181], v[40:41], v[44:45] neg_lo:[0,1] neg_hi:[0,1]
	v_pk_add_f32 v[182:183], v[40:41], v[44:45]
	v_mul_f32_e32 v58, 0xbf1a4643, v84
	v_mul_f32_e32 v70, 0xbf4c4adb, v95
	v_mov_b32_e32 v181, v182
	v_pk_add_f32 v[182:183], v[46:47], v[56:57] neg_lo:[0,1] neg_hi:[0,1]
	v_pk_add_f32 v[184:185], v[46:47], v[56:57]
	v_mul_f32_e32 v130, 0x3f65296c, v91
	v_mov_b32_e32 v183, v184
	v_pk_add_f32 v[184:185], v[58:59], v[70:71] neg_lo:[0,1] neg_hi:[0,1]
	v_pk_add_f32 v[186:187], v[58:59], v[70:71]
	v_mul_f32_e32 v134, 0xbe8c1d8e, v80
	v_mul_f32_e32 v136, 0xbf763a35, v89
	v_mov_b32_e32 v185, v186
	v_pk_add_f32 v[186:187], v[128:129], v[130:131] neg_lo:[0,1] neg_hi:[0,1]
	v_pk_add_f32 v[128:129], v[128:129], v[130:131]
	v_mul_f32_e32 v154, 0x3dbcf732, v74
	;; [unrolled: 5-line block ×3, first 2 shown]
	v_mov_b32_e32 v129, v130
	v_pk_add_f32 v[130:131], v[154:155], v[156:157] neg_lo:[0,1] neg_hi:[0,1]
	v_pk_add_f32 v[134:135], v[154:155], v[156:157]
	v_pk_add_f32 v[136:137], v[26:27], v[4:5]
	v_mov_b32_e32 v131, v134
	v_pk_add_f32 v[134:135], v[26:27], v[4:5] neg_lo:[0,1] neg_hi:[0,1]
	v_add_u32_e32 v1, 0x4a4, v126
	v_mov_b32_e32 v135, v136
	v_pk_add_f32 v[134:135], v[114:115], v[134:135] op_sel:[1,0]
	v_pk_fma_f32 v[142:143], v[98:99], s[28:29], v[142:143] op_sel:[1,0,0]
	v_pk_add_f32 v[134:135], v[134:135], v[178:179]
	v_pk_add_f32 v[142:143], v[114:115], v[142:143] op_sel:[1,0]
	v_pk_add_f32 v[134:135], v[134:135], v[180:181]
	v_pk_fma_f32 v[136:137], v[94:95], s[68:69], v[168:169] op_sel:[1,0,0]
	v_pk_add_f32 v[134:135], v[134:135], v[182:183]
	v_pk_fma_f32 v[154:155], v[90:91], s[46:47], v[170:171] op_sel:[1,0,0]
	;; [unrolled: 2-line block ×3, first 2 shown]
	v_pk_add_f32 v[134:135], v[134:135], v[186:187]
	v_add_u32_e32 v6, 0x4ac, v126
	v_pk_add_f32 v[128:129], v[134:135], v[128:129]
	v_pk_fma_f32 v[134:135], v[96:97], s[58:59], v[166:167] op_sel:[1,0,0]
	v_pk_add_f32 v[128:129], v[128:129], v[130:131]
	ds_write2_b32 v1, v128, v129 offset1:1
	v_pk_fma_f32 v[128:129], v[100:101], s[36:37], v[162:163] op_sel:[1,0,0]
	v_pk_fma_f32 v[130:131], v[102:103], s[30:31], v[164:165] op_sel:[1,0,0]
	v_pk_add_f32 v[128:129], v[142:143], v[128:129]
	v_pk_fma_f32 v[162:163], v[76:77], s[50:51], v[174:175] op_sel:[1,0,0]
	v_pk_add_f32 v[128:129], v[128:129], v[130:131]
	;; [unrolled: 2-line block ×7, first 2 shown]
	ds_write2_b32 v6, v129, v128 offset1:1
	v_pk_fma_f32 v[128:129], v[100:101], s[64:65], v[140:141] op_sel:[1,0,0]
	s_mov_b64 s[64:65], s[14:15]
	v_pk_fma_f32 v[146:147], v[98:99], s[64:65], v[176:177] op_sel:[1,0,0]
	v_pk_fma_f32 v[140:141], v[90:91], s[54:55], v[150:151] op_sel:[1,0,0]
	v_pk_add_f32 v[146:147], v[114:115], v[146:147] op_sel:[1,0]
	v_add_u32_e32 v6, 0x4b4, v126
	v_pk_add_f32 v[128:129], v[146:147], v[128:129]
	v_pk_fma_f32 v[116:117], v[100:101], s[22:23], v[116:117] op_sel:[1,0,0]
	v_pk_add_f32 v[128:129], v[128:129], v[130:131]
	v_pk_fma_f32 v[118:119], v[102:103], s[16:17], v[118:119] op_sel:[1,0,0]
	v_pk_add_f32 v[128:129], v[128:129], v[134:135]
	s_mov_b32 s28, 0x3f06c442
	v_pk_add_f32 v[128:129], v[128:129], v[136:137]
	v_pk_fma_f32 v[120:121], v[96:97], s[18:19], v[120:121] op_sel:[1,0,0]
	v_pk_add_f32 v[128:129], v[128:129], v[140:141]
	s_mov_b32 s29, 0x3f2c7751
	v_pk_add_f32 v[128:129], v[128:129], v[142:143]
	v_pk_fma_f32 v[122:123], v[94:95], s[28:29], v[122:123] op_sel:[1,0,0]
	v_pk_add_f32 v[128:129], v[128:129], v[144:145]
	ds_write2_b32 v6, v129, v128 offset1:1
	v_pk_fma_f32 v[128:129], v[88:89], s[2:3], v[132:133] op_sel:[1,0,0]
	v_pk_fma_f32 v[132:133], v[98:99], s[12:13], v[160:161] op_sel:[1,0,0]
	;; [unrolled: 1-line block ×3, first 2 shown]
	v_pk_add_f32 v[114:115], v[114:115], v[132:133] op_sel:[1,0]
	s_mov_b64 s[8:9], s[62:63]
	v_pk_add_f32 v[114:115], v[114:115], v[116:117]
	s_mov_b64 s[62:63], s[40:41]
	v_pk_add_f32 v[114:115], v[114:115], v[118:119]
	;; [unrolled: 2-line block ×5, first 2 shown]
	s_mov_b64 s[60:61], s[40:41]
	s_mov_b64 s[40:41], s[62:63]
	;; [unrolled: 1-line block ×3, first 2 shown]
	s_mov_b32 s8, 0xbe8c1d8e
	v_pk_fma_f32 v[130:131], v[76:77], s[88:89], v[138:139] op_sel:[1,0,0]
	v_pk_add_f32 v[114:115], v[114:115], v[128:129]
	s_mov_b32 s9, 0xbf763a35
	s_mov_b64 s[14:15], s[24:25]
	s_mov_b64 s[24:25], s[80:81]
	v_add_u32_e32 v6, 0x4bc, v126
	v_pk_add_f32 v[114:115], v[114:115], v[130:131]
	ds_write2_b32 v6, v115, v114 offset1:1
	ds_write_b32 v126, v24 offset:1220
	v_mov_b32_e32 v4, v115
	v_mov_b32_e32 v1, v114
.LBB0_14:
	s_or_b64 exec, exec, s[26:27]
	v_add_f32_e32 v1, v43, v59
	v_add_f32_e32 v1, v1, v57
	;; [unrolled: 1-line block ×4, first 2 shown]
	v_mov_b32_e32 v114, v69
	v_mov_b32_e32 v69, v66
	;; [unrolled: 1-line block ×7, first 2 shown]
	v_pk_add_f32 v[68:69], v[68:69], v[116:117] neg_lo:[0,1] neg_hi:[0,1]
	s_mov_b32 s28, 0x3f06c442
	v_pk_add_f32 v[66:67], v[114:115], v[66:67]
	s_mov_b32 s29, 0x3f2c7751
	v_mov_b32_e32 v114, v66
	v_mov_b32_e32 v115, v68
	s_mov_b32 s26, s29
	s_mov_b32 s27, s7
	v_pk_mul_f32 v[128:129], v[114:115], s[92:93]
	v_pk_mul_f32 v[116:117], v[68:69], s[26:27]
	v_mov_b32_e32 v1, v128
	s_mov_b32 s26, s90
	s_mov_b32 s27, s6
	v_pk_fma_f32 v[118:119], v[114:115], s[92:93], v[0:1]
	v_pk_fma_f32 v[120:121], v[66:67], s[26:27], v[116:117]
	v_pk_fma_f32 v[122:123], v[66:67], s[26:27], v[116:117] neg_lo:[0,0,1] neg_hi:[0,0,1]
	v_mov_b32_e32 v114, v62
	v_mov_b32_e32 v115, v60
	v_mov_b32_e32 v116, v48
	v_mov_b32_e32 v117, v50
	v_pk_add_f32 v[116:117], v[114:115], v[116:117] neg_lo:[0,1] neg_hi:[0,1]
	v_mov_b32_e32 v114, v67
	v_mov_b32_e32 v115, v69
	v_pk_mul_f32 v[132:133], v[114:115], s[20:21]
	v_mov_b32_e32 v134, v49
	v_mov_b32_e32 v1, v132
	v_pk_fma_f32 v[124:125], v[114:115], s[20:21], v[0:1]
	v_mov_b32_e32 v114, v64
	v_mov_b32_e32 v115, v61
	;; [unrolled: 1-line block ×3, first 2 shown]
	v_pk_add_f32 v[114:115], v[114:115], v[134:135]
	v_mov_b32_e32 v38, v71
	v_mov_b32_e32 v56, v63
	;; [unrolled: 1-line block ×4, first 2 shown]
	v_pk_add_f32 v[62:63], v[38:39], v[56:57]
	v_pk_mul_f32 v[136:137], v[134:135], s[94:95]
	v_mov_b32_e32 v70, v63
	v_mov_b32_e32 v71, v92
	;; [unrolled: 1-line block ×3, first 2 shown]
	v_pk_mul_f32 v[140:141], v[70:71], s[90:91]
	v_pk_fma_f32 v[134:135], v[134:135], s[94:95], v[0:1]
	v_mov_b32_e32 v1, v140
	s_mov_b32 s26, s2
	s_mov_b32 s27, s95
	v_pk_fma_f32 v[142:143], v[70:71], s[90:91], v[0:1]
	v_add_f32_e32 v58, v4, v61
	v_mov_b32_e32 v70, v105
	v_mov_b32_e32 v71, v110
	v_pk_mul_f32 v[130:131], v[116:117], s[26:27]
	s_mov_b32 s21, s94
	v_pk_add_f32 v[58:59], v[58:59], v[64:65]
	v_pk_mul_f32 v[150:151], v[70:71], s[6:7]
	v_mov_b32_e32 v112, v47
	v_pk_fma_f32 v[138:139], v[114:115], s[20:21], v[130:131]
	v_pk_fma_f32 v[130:131], v[114:115], s[20:21], v[130:131] neg_lo:[0,0,1] neg_hi:[0,0,1]
	v_mov_b32_e32 v60, v59
	v_mov_b32_e32 v61, v92
	s_mov_b32 s20, s96
	s_mov_b32 s21, s88
	v_pk_add_f32 v[56:57], v[38:39], v[56:57] neg_lo:[0,1] neg_hi:[0,1]
	v_mov_b32_e32 v1, v150
	v_pk_add_f32 v[46:47], v[58:59], v[112:113]
	v_pk_mul_f32 v[112:113], v[58:59], v[112:113]
	v_pk_mul_f32 v[144:145], v[60:61], s[20:21]
	v_mov_b32_e32 v60, v56
	v_mov_b32_e32 v61, v63
	s_mov_b32 s20, s97
	s_mov_b32 s21, s53
	v_pk_fma_f32 v[152:153], v[70:71], s[6:7], v[0:1]
	v_mov_b32_e32 v47, v113
	v_mov_b32_e32 v124, v49
	v_mul_f32_e32 v49, 0xbeb8f4ab, v56
	v_mov_b32_e32 v48, v41
	v_pk_mul_f32 v[146:147], v[60:61], s[20:21]
	v_pk_fma_f32 v[148:149], v[60:61], s[20:21], v[144:145]
	v_mov_b32_e32 v60, v115
	v_mov_b32_e32 v61, v117
	;; [unrolled: 1-line block ×3, first 2 shown]
	v_pk_add_f32 v[38:39], v[46:47], v[48:49]
	v_pk_mul_f32 v[154:155], v[60:61], s[8:9]
	v_mov_b32_e32 v142, v45
	v_pk_add_f32 v[38:39], v[38:39], v[42:43]
	v_mov_b32_e32 v1, v154
	v_pk_mul_f32 v[158:159], v[70:71], s[8:9]
	v_pk_add_f32 v[38:39], v[38:39], v[142:143]
	v_pk_fma_f32 v[156:157], v[60:61], s[8:9], v[0:1]
	v_mov_b32_e32 v4, v159
	v_mov_b32_e32 v1, v158
	;; [unrolled: 1-line block ×5, first 2 shown]
	v_pk_add_f32 v[38:39], v[38:39], v[124:125]
	v_pk_mul_f32 v[160:161], v[158:159], s[96:97]
	v_mov_b32_e32 v156, v53
	v_pk_add_f32 v[38:39], v[38:39], v[118:119]
	v_pk_fma_f32 v[60:61], v[70:71], s[8:9], v[4:5]
	v_pk_fma_f32 v[70:71], v[70:71], s[8:9], v[0:1] neg_lo:[1,0,0] neg_hi:[1,0,0]
	v_mov_b32_e32 v1, v160
	v_mov_b32_e32 v134, v55
	v_pk_add_f32 v[38:39], v[38:39], v[156:157]
	v_readlane_b32 s6, v194, 14
	v_pk_fma_f32 v[158:159], v[158:159], s[96:97], v[0:1]
	v_pk_mul_f32 v[162:163], v[56:57], s[12:13] op_sel_hi:[0,1]
	v_pk_add_f32 v[38:39], v[38:39], v[134:135]
	v_readlane_b32 s8, v194, 16
	v_readlane_b32 s7, v194, 15
	v_pk_mul_f32 v[164:165], v[92:93], s[22:23] op_sel_hi:[0,1]
	v_fmac_f32_e32 v113, 0x3eb8f4ab, v56
	v_mov_b32_e32 v50, v144
	v_mov_b32_e32 v51, v147
	v_mov_b32_e32 v147, v145
	v_pk_add_f32 v[38:39], v[38:39], v[152:153]
	v_mov_b32_e32 v158, v65
	v_readlane_b32 s9, v194, 17
	v_pk_fma_f32 v[118:119], v[58:59], s[6:7], v[162:163] op_sel:[1,0,0]
	v_pk_mul_f32 v[166:167], v[68:69], s[16:17] op_sel:[1,0]
	v_add_f32_e32 v14, v113, v43
	v_mov_b32_e32 v4, v43
	v_pk_add_f32 v[50:51], v[50:51], v[146:147] neg_lo:[0,1] neg_hi:[0,1]
	v_pk_add_f32 v[112:113], v[38:39], v[158:159]
	v_pk_fma_f32 v[38:39], v[62:63], s[8:9], v[164:165] op_sel:[1,0,0]
	v_pk_add_f32 v[118:119], v[118:119], v[42:43] op_sel:[0,1]
	v_pk_mul_f32 v[168:169], v[68:69], s[18:19] op_sel_hi:[0,1]
	v_pk_add_f32 v[44:45], v[148:149], v[4:5]
	v_pk_add_f32 v[52:53], v[50:51], v[4:5]
	v_mov_b32_e32 v4, v149
	v_pk_fma_f32 v[40:41], v[66:67], s[10:11], v[166:167] op_sel:[1,0,0]
	v_pk_add_f32 v[38:39], v[118:119], v[38:39]
	v_pk_add_f32 v[44:45], v[44:45], v[4:5]
	v_mov_b32_e32 v4, v51
	v_pk_fma_f32 v[46:47], v[66:67], s[70:71], v[168:169] op_sel_hi:[0,1,1]
	v_pk_mul_f32 v[48:49], v[116:117], s[28:29] op_sel:[1,0]
	v_pk_add_f32 v[38:39], v[40:41], v[38:39]
	v_pk_add_f32 v[50:51], v[52:53], v[4:5]
	v_pk_fma_f32 v[52:53], v[114:115], s[98:99], v[48:49] op_sel:[1,0,0]
	v_pk_mul_f32 v[54:55], v[116:117], s[56:57] op_sel_hi:[0,1]
	v_pk_add_f32 v[38:39], v[46:47], v[38:39]
	v_pk_fma_f32 v[64:65], v[114:115], s[52:53], v[54:55] op_sel_hi:[0,1,1]
	v_pk_add_f32 v[38:39], v[52:53], v[38:39]
	v_pk_mul_f32 v[40:41], v[110:111], s[2:3] op_sel_hi:[0,1]
	v_mov_b32_e32 v4, v121
	v_pk_add_f32 v[38:39], v[64:65], v[38:39]
	v_pk_fma_f32 v[46:47], v[104:105], s[0:1], v[40:41] op_sel:[1,0,0]
	v_pk_add_f32 v[44:45], v[4:5], v[44:45]
	v_pk_add_f32 v[38:39], v[46:47], v[38:39]
	v_pk_mul_f32 v[46:47], v[108:109], s[88:89] op_sel_hi:[0,1]
	v_pk_add_f32 v[44:45], v[120:121], v[44:45]
	v_pk_fma_f32 v[52:53], v[106:107], s[4:5], v[46:47] op_sel:[1,0,0]
	v_pk_fma_f32 v[120:121], v[58:59], s[6:7], v[162:163] op_sel:[1,0,0] neg_lo:[0,0,1] neg_hi:[0,0,1]
	v_pk_add_f32 v[118:119], v[52:53], v[38:39]
	v_pk_fma_f32 v[38:39], v[62:63], s[8:9], v[164:165] op_sel:[1,0,0] neg_lo:[0,0,1] neg_hi:[0,0,1]
	v_pk_add_f32 v[120:121], v[120:121], v[42:43] op_sel:[0,1]
	v_pk_fma_f32 v[52:53], v[66:67], s[10:11], v[166:167] op_sel:[1,0,0] neg_lo:[0,0,1] neg_hi:[0,0,1]
	v_pk_add_f32 v[38:39], v[120:121], v[38:39]
	v_pk_fma_f32 v[64:65], v[66:67], s[70:71], v[168:169] op_sel_hi:[0,1,1] neg_lo:[0,0,1] neg_hi:[0,0,1]
	v_pk_add_f32 v[38:39], v[52:53], v[38:39]
	v_pk_fma_f32 v[48:49], v[114:115], s[98:99], v[48:49] op_sel:[1,0,0] neg_lo:[0,0,1] neg_hi:[0,0,1]
	v_pk_add_f32 v[38:39], v[64:65], v[38:39]
	v_pk_fma_f32 v[54:55], v[114:115], s[52:53], v[54:55] op_sel_hi:[0,1,1] neg_lo:[0,0,1] neg_hi:[0,0,1]
	v_pk_add_f32 v[38:39], v[48:49], v[38:39]
	v_pk_fma_f32 v[40:41], v[104:105], s[0:1], v[40:41] op_sel:[1,0,0] neg_lo:[0,0,1] neg_hi:[0,0,1]
	v_pk_add_f32 v[38:39], v[54:55], v[38:39]
	v_readlane_b32 s0, v194, 18
	v_pk_add_f32 v[38:39], v[40:41], v[38:39]
	v_pk_fma_f32 v[40:41], v[106:107], s[4:5], v[46:47] op_sel:[1,0,0] neg_lo:[0,0,1] neg_hi:[0,0,1]
	v_readlane_b32 s1, v194, 19
	v_pk_add_f32 v[120:121], v[40:41], v[38:39]
	v_pk_mul_f32 v[38:39], v[56:57], s[64:65] op_sel_hi:[0,1]
	v_sub_f32_e32 v1, v132, v133
	v_pk_mul_f32 v[40:41], v[92:93], s[0:1] op_sel_hi:[0,1]
	v_pk_fma_f32 v[132:133], v[58:59], s[72:73], v[38:39] op_sel:[1,0,0]
	v_mov_b32_e32 v4, v123
	v_pk_fma_f32 v[46:47], v[62:63], s[74:75], v[40:41] op_sel:[1,0,0]
	v_pk_mul_f32 v[48:49], v[68:69], s[66:67] op_sel:[1,0]
	v_pk_add_f32 v[132:133], v[132:133], v[42:43] op_sel:[0,1]
	v_pk_add_f32 v[50:51], v[4:5], v[50:51]
	v_mov_b32_e32 v4, v139
	v_pk_fma_f32 v[52:53], v[66:67], s[76:77], v[48:49] op_sel:[1,0,0]
	v_pk_mul_f32 v[54:55], v[68:69], s[82:83] op_sel_hi:[0,1]
	v_pk_add_f32 v[46:47], v[132:133], v[46:47]
	v_pk_add_f32 v[50:51], v[122:123], v[50:51]
	;; [unrolled: 1-line block ×3, first 2 shown]
	v_mov_b32_e32 v4, v131
	v_pk_fma_f32 v[64:65], v[66:67], s[78:79], v[54:55] op_sel_hi:[0,1,1]
	v_pk_mul_f32 v[122:123], v[116:117], s[84:85] op_sel:[1,0]
	v_readlane_b32 s0, v194, 10
	v_pk_add_f32 v[46:47], v[52:53], v[46:47]
	v_sub_f32_e32 v6, v128, v129
	v_pk_add_f32 v[50:51], v[4:5], v[50:51]
	v_pk_fma_f32 v[124:125], v[114:115], s[14:15], v[122:123] op_sel:[1,0,0]
	v_pk_mul_f32 v[128:129], v[116:117], s[54:55] op_sel_hi:[0,1]
	v_readlane_b32 s1, v194, 11
	v_pk_add_f32 v[46:47], v[64:65], v[46:47]
	v_pk_add_f32 v[50:51], v[130:131], v[50:51]
	v_pk_fma_f32 v[130:131], v[114:115], s[0:1], v[128:129] op_sel_hi:[0,1,1]
	v_pk_add_f32 v[46:47], v[124:125], v[46:47]
	v_pk_mul_f32 v[52:53], v[110:111], s[48:49] op_sel_hi:[0,1]
	v_pk_add_f32 v[46:47], v[130:131], v[46:47]
	v_pk_fma_f32 v[64:65], v[104:105], s[24:25], v[52:53] op_sel:[1,0,0]
	v_readlane_b32 s2, v194, 12
	v_pk_add_f32 v[46:47], v[64:65], v[46:47]
	v_pk_mul_f32 v[64:65], v[108:109], s[86:87] op_sel_hi:[0,1]
	v_readlane_b32 s3, v194, 13
	v_pk_fma_f32 v[38:39], v[58:59], s[72:73], v[38:39] op_sel:[1,0,0] neg_lo:[0,0,1] neg_hi:[0,0,1]
	v_pk_fma_f32 v[40:41], v[62:63], s[74:75], v[40:41] op_sel:[1,0,0] neg_lo:[0,0,1] neg_hi:[0,0,1]
	v_pk_fma_f32 v[124:125], v[106:107], s[2:3], v[64:65] op_sel:[1,0,0]
	v_pk_add_f32 v[38:39], v[38:39], v[42:43] op_sel:[0,1]
	v_pk_add_f32 v[124:125], v[124:125], v[46:47]
	v_pk_fma_f32 v[46:47], v[66:67], s[76:77], v[48:49] op_sel:[1,0,0] neg_lo:[0,0,1] neg_hi:[0,0,1]
	v_pk_add_f32 v[38:39], v[38:39], v[40:41]
	v_pk_fma_f32 v[48:49], v[66:67], s[78:79], v[54:55] op_sel_hi:[0,1,1] neg_lo:[0,0,1] neg_hi:[0,0,1]
	v_pk_add_f32 v[38:39], v[46:47], v[38:39]
	v_pk_fma_f32 v[54:55], v[114:115], s[14:15], v[122:123] op_sel:[1,0,0] neg_lo:[0,0,1] neg_hi:[0,0,1]
	v_pk_add_f32 v[38:39], v[48:49], v[38:39]
	v_pk_fma_f32 v[122:123], v[114:115], s[0:1], v[128:129] op_sel_hi:[0,1,1] neg_lo:[0,0,1] neg_hi:[0,0,1]
	v_pk_add_f32 v[38:39], v[54:55], v[38:39]
	v_pk_fma_f32 v[40:41], v[104:105], s[24:25], v[52:53] op_sel:[1,0,0] neg_lo:[0,0,1] neg_hi:[0,0,1]
	v_pk_add_f32 v[38:39], v[122:123], v[38:39]
	v_readlane_b32 s0, v194, 22
	v_pk_add_f32 v[38:39], v[40:41], v[38:39]
	v_pk_fma_f32 v[40:41], v[106:107], s[2:3], v[64:65] op_sel:[1,0,0] neg_lo:[0,0,1] neg_hi:[0,0,1]
	v_readlane_b32 s1, v194, 23
	v_pk_add_f32 v[122:123], v[40:41], v[38:39]
	v_readlane_b32 s2, v194, 6
	v_pk_mul_f32 v[38:39], v[56:57], s[0:1] op_sel_hi:[0,1]
	v_readlane_b32 s0, v194, 20
	v_readlane_b32 s1, v194, 21
	;; [unrolled: 1-line block ×3, first 2 shown]
	v_pk_mul_f32 v[48:49], v[68:69], s[30:31] op_sel:[1,0]
	v_pk_mul_f32 v[40:41], v[92:93], s[0:1] op_sel_hi:[0,1]
	v_readlane_b32 s0, v194, 8
	v_readlane_b32 s1, v194, 9
	v_pk_fma_f32 v[128:129], v[58:59], s[2:3], v[38:39] op_sel:[1,0,0]
	v_pk_fma_f32 v[52:53], v[66:67], s[38:39], v[48:49] op_sel:[1,0,0]
	v_pk_fma_f32 v[46:47], v[62:63], s[0:1], v[40:41] op_sel:[1,0,0]
	v_pk_add_f32 v[128:129], v[128:129], v[42:43] op_sel:[0,1]
	v_pk_mul_f32 v[54:55], v[68:69], s[58:59] op_sel_hi:[0,1]
	v_pk_add_f32 v[46:47], v[128:129], v[46:47]
	v_pk_fma_f32 v[56:57], v[66:67], s[42:43], v[54:55] op_sel_hi:[0,1,1]
	v_pk_mul_f32 v[64:65], v[116:117], s[68:69] op_sel:[1,0]
	v_pk_add_f32 v[46:47], v[52:53], v[46:47]
	v_pk_fma_f32 v[68:69], v[114:115], s[34:35], v[64:65] op_sel:[1,0,0]
	v_pk_mul_f32 v[92:93], v[116:117], s[46:47] op_sel_hi:[0,1]
	v_pk_add_f32 v[46:47], v[56:57], v[46:47]
	v_pk_fma_f32 v[116:117], v[114:115], s[60:61], v[92:93] op_sel_hi:[0,1,1]
	v_pk_add_f32 v[46:47], v[68:69], v[46:47]
	v_pk_mul_f32 v[52:53], v[110:111], s[44:45] op_sel_hi:[0,1]
	v_pk_add_f32 v[46:47], v[116:117], v[46:47]
	v_pk_fma_f32 v[56:57], v[104:105], s[40:41], v[52:53] op_sel:[1,0,0]
	v_pk_fma_f32 v[38:39], v[58:59], s[2:3], v[38:39] op_sel:[1,0,0] neg_lo:[0,0,1] neg_hi:[0,0,1]
	v_pk_add_f32 v[46:47], v[56:57], v[46:47]
	v_pk_mul_f32 v[56:57], v[108:109], s[50:51] op_sel_hi:[0,1]
	v_pk_fma_f32 v[68:69], v[106:107], s[62:63], v[56:57] op_sel:[1,0,0]
	v_pk_fma_f32 v[40:41], v[62:63], s[0:1], v[40:41] op_sel:[1,0,0] neg_lo:[0,0,1] neg_hi:[0,0,1]
	v_pk_add_f32 v[38:39], v[38:39], v[42:43] op_sel:[0,1]
	v_sub_f32_e32 v12, v140, v141
	v_pk_add_f32 v[68:69], v[68:69], v[46:47]
	v_pk_fma_f32 v[46:47], v[66:67], s[38:39], v[48:49] op_sel:[1,0,0] neg_lo:[0,0,1] neg_hi:[0,0,1]
	v_pk_add_f32 v[38:39], v[38:39], v[40:41]
	v_add_f32_e32 v12, v14, v12
	v_pk_fma_f32 v[48:49], v[66:67], s[42:43], v[54:55] op_sel_hi:[0,1,1] neg_lo:[0,0,1] neg_hi:[0,0,1]
	v_pk_add_f32 v[38:39], v[46:47], v[38:39]
	v_add_f32_e32 v1, v1, v12
	v_pk_fma_f32 v[54:55], v[114:115], s[34:35], v[64:65] op_sel:[1,0,0] neg_lo:[0,0,1] neg_hi:[0,0,1]
	v_pk_add_f32 v[38:39], v[48:49], v[38:39]
	v_sub_f32_e32 v8, v154, v155
	v_add_f32_e32 v1, v6, v1
	v_pk_fma_f32 v[62:63], v[114:115], s[60:61], v[92:93] op_sel_hi:[0,1,1] neg_lo:[0,0,1] neg_hi:[0,0,1]
	v_pk_add_f32 v[38:39], v[54:55], v[38:39]
	v_sub_f32_e32 v10, v136, v137
	v_add_f32_e32 v1, v8, v1
	v_pk_add_f32 v[38:39], v[62:63], v[38:39]
	v_pk_fma_f32 v[40:41], v[104:105], s[40:41], v[52:53] op_sel:[1,0,0] neg_lo:[0,0,1] neg_hi:[0,0,1]
	v_add_f32_e32 v1, v10, v1
	v_sub_f32_e32 v4, v150, v151
	v_pk_add_f32 v[38:39], v[40:41], v[38:39]
	v_pk_fma_f32 v[40:41], v[106:107], s[62:63], v[56:57] op_sel:[1,0,0] neg_lo:[0,0,1] neg_hi:[0,0,1]
	v_pk_add_f32 v[44:45], v[138:139], v[44:45]
	v_add_f32_e32 v1, v4, v1
	v_sub_f32_e32 v4, v160, v161
	v_pk_add_f32 v[92:93], v[40:41], v[38:39]
	v_mul_f32_e32 v38, 0x3dbcf732, v107
	v_mul_f32_e32 v70, 0x3f7ee86f, v108
	v_mov_b32_e32 v39, v50
	v_add_f32_e32 v6, v4, v1
	v_pk_add_f32 v[40:41], v[38:39], v[70:71]
	v_mov_b32_e32 v42, v44
	v_mov_b32_e32 v43, v38
	;; [unrolled: 1-line block ×4, first 2 shown]
	v_lshlrev_b32_e32 v65, 2, v127
	v_lshlrev_b32_e32 v4, 2, v0
	v_pk_add_f32 v[44:45], v[44:45], v[60:61]
	v_pk_add_f32 v[38:39], v[42:43], v[38:39] neg_lo:[0,1] neg_hi:[0,1]
	v_add3_u32 v61, 0, v4, v65
	v_mov_b32_e32 v45, v39
	v_add_u32_e32 v64, 0x200, v61
	v_add_u32_e32 v63, 0x400, v61
	v_pk_add_f32 v[70:71], v[40:41], v[44:45]
	s_waitcnt lgkmcnt(0)
	; wave barrier
	s_waitcnt lgkmcnt(0)
	v_add3_u32 v1, 0, v65, v4
	ds_read2_b32 v[38:39], v61 offset0:119 offset1:136
	ds_read2_b32 v[46:47], v64 offset0:127 offset1:144
	;; [unrolled: 1-line block ×11, first 2 shown]
	ds_read_b32 v66, v1
	ds_read_b32 v67, v61 offset:1564
	v_add_u32_e32 v60, 17, v0
	s_waitcnt lgkmcnt(0)
	; wave barrier
	s_waitcnt lgkmcnt(0)
	ds_write2_b32 v126, v112, v113 offset1:1
	ds_write2_b32 v126, v118, v119 offset0:2 offset1:3
	ds_write2_b32 v126, v124, v125 offset0:4 offset1:5
	;; [unrolled: 1-line block ×6, first 2 shown]
	v_mov_b32_e32 v4, v121
	ds_write2_b32 v126, v121, v120 offset0:14 offset1:15
	ds_write_b32 v126, v6 offset:64
	s_and_saveexec_b64 s[0:1], vcc
	s_cbranch_execz .LBB0_16
; %bb.15:
	v_mov_b32_e32 v4, v29
	v_pk_add_f32 v[28:29], v[4:5], v[22:23]
	s_mov_b32 s6, 0x3f3d2fb0
	v_pk_add_f32 v[28:29], v[28:29], v[36:37]
	s_mov_b32 s7, 0xbf2c7751
	;; [unrolled: 2-line block ×4, first 2 shown]
	v_pk_add_f32 v[28:29], v[28:29], v[30:31]
	v_mov_b32_e32 v30, v73
	v_mov_b32_e32 v31, v100
	v_pk_mul_f32 v[34:35], v[30:31], s[6:7]
	s_mov_b32 s11, 0xbf7ee86f
	v_mov_b32_e32 v37, v34
	v_pk_fma_f32 v[68:69], v[30:31], s[6:7], v[36:37]
	v_mov_b32_e32 v30, v79
	v_mov_b32_e32 v31, v102
	v_sub_f32_e32 v62, v34, v35
	v_pk_mul_f32 v[34:35], v[30:31], s[2:3]
	s_mov_b32 s10, 0x3dbcf732
	v_mov_b32_e32 v37, v34
	v_pk_fma_f32 v[70:71], v[30:31], s[2:3], v[36:37]
	v_mov_b32_e32 v30, v83
	v_mov_b32_e32 v31, v96
	v_sub_f32_e32 v112, v34, v35
	v_pk_mul_f32 v[34:35], v[30:31], s[10:11]
	s_mov_b32 s16, 0xbe8c1d8e
	v_mov_b32_e32 v37, v34
	v_pk_fma_f32 v[92:93], v[30:31], s[10:11], v[36:37]
	v_mov_b32_e32 v30, v85
	v_mov_b32_e32 v31, v94
	s_mov_b32 s17, 0xbf763a35
	v_sub_f32_e32 v113, v34, v35
	v_pk_mul_f32 v[34:35], v[30:31], s[16:17]
	s_mov_b32 s18, 0xbf1a4643
	v_mov_b32_e32 v37, v34
	v_pk_fma_f32 v[104:105], v[30:31], s[16:17], v[36:37]
	s_mov_b32 s19, 0xbf4c4adb
	v_mov_b32_e32 v30, v87
	v_mov_b32_e32 v31, v90
	v_sub_f32_e32 v114, v34, v35
	v_pk_mul_f32 v[34:35], v[30:31], s[18:19]
	v_mov_b32_e32 v22, v29
	v_mov_b32_e32 v37, v34
	;; [unrolled: 1-line block ×3, first 2 shown]
	v_pk_fma_f32 v[106:107], v[30:31], s[18:19], v[36:37]
	v_pk_add_f32 v[36:37], v[22:23], v[6:7]
	v_mov_b32_e32 v23, 0x3f6eb680
	v_mov_b32_e32 v22, v25
	v_pk_add_f32 v[110:111], v[36:37], v[22:23]
	v_pk_mul_f32 v[22:23], v[36:37], v[22:23]
	v_mul_f32_e32 v33, 0xbeb8f4ab, v98
	v_mov_b32_e32 v111, v23
	v_fmac_f32_e32 v23, 0x3eb8f4ab, v98
	v_mov_b32_e32 v32, v9
	v_add_f32_e32 v6, v5, v23
	v_pk_add_f32 v[32:33], v[110:111], v[32:33]
	v_add_f32_e32 v6, v6, v62
	s_mov_b32 s14, 0xbf59a7d5
	v_pk_add_f32 v[32:33], v[32:33], v[4:5]
	v_mov_b32_e32 v68, v13
	v_add_f32_e32 v6, v6, v112
	s_mov_b32 s4, 0xbf7ba420
	s_mov_b32 s15, 0xbf06c442
	v_sub_f32_e32 v115, v34, v35
	v_mov_b32_e32 v34, v81
	v_mov_b32_e32 v35, v88
	v_pk_add_f32 v[32:33], v[68:69], v[32:33]
	v_mov_b32_e32 v70, v11
	v_add_f32_e32 v6, v6, v113
	s_mov_b32 s5, 0xbe3c28d5
	v_pk_mul_f32 v[108:109], v[34:35], s[14:15]
	v_pk_add_f32 v[32:33], v[70:71], v[32:33]
	v_mov_b32_e32 v92, v21
	v_add_f32_e32 v6, v6, v114
	v_mov_b32_e32 v70, v75
	v_mov_b32_e32 v71, v76
	v_mul_f32_e32 v30, 0x3f65296c, v90
	v_mov_b32_e32 v31, v108
	v_pk_add_f32 v[32:33], v[92:93], v[32:33]
	v_mov_b32_e32 v104, v19
	v_add_f32_e32 v6, v6, v115
	v_sub_f32_e32 v9, v108, v109
	v_pk_mul_f32 v[92:93], v[70:71], s[4:5]
	v_mul_f32_e32 v8, 0xbe3c28d5, v98
	v_pk_fma_f32 v[34:35], v[34:35], s[14:15], v[30:31]
	v_pk_add_f32 v[32:33], v[104:105], v[32:33]
	v_mov_b32_e32 v106, v17
	v_add_f32_e32 v11, v6, v9
	v_mov_b32_e32 v9, v92
	v_pk_add_f32 v[32:33], v[106:107], v[32:33]
	v_mov_b32_e32 v34, v15
	v_pk_fma_f32 v[70:71], v[70:71], s[4:5], v[8:9]
	v_pk_add_f32 v[68:69], v[34:35], v[32:33]
	v_mov_b32_e32 v70, v7
	s_mov_b32 s26, s7
	s_mov_b32 s27, s3
	v_pk_add_f32 v[6:7], v[70:71], v[68:69]
	v_pk_mul_f32 v[68:69], v[98:99], s[26:27] op_sel_hi:[0,1]
	s_mov_b32 s26, s11
	s_mov_b32 s27, s19
	;; [unrolled: 1-line block ×6, first 2 shown]
	v_pk_mul_f32 v[70:71], v[100:101], s[26:27] op_sel_hi:[0,1]
	s_mov_b32 s27, 0x3e3c28d5
	s_mov_b32 s26, s19
	v_pk_fma_f32 v[120:121], v[36:37], s[38:39], v[68:69] op_sel:[1,0,0]
	v_sub_f32_e32 v9, v92, v93
	v_pk_fma_f32 v[92:93], v[72:73], s[28:29], v[70:71] op_sel:[1,0,0]
	s_mov_b32 s30, s18
	s_mov_b32 s31, s4
	v_pk_mul_f32 v[104:105], v[102:103], s[26:27] op_sel_hi:[0,1]
	s_mov_b32 s27, 0x3f763a35
	s_mov_b32 s26, s5
	v_pk_add_f32 v[120:121], v[4:5], v[120:121] op_sel:[1,0]
	s_mov_b32 s21, 0x3f2c7751
	v_pk_fma_f32 v[106:107], v[78:79], s[30:31], v[104:105] op_sel:[1,0,0]
	s_mov_b32 s34, s4
	s_mov_b32 s35, s16
	v_pk_mul_f32 v[108:109], v[96:97], s[26:27] op_sel_hi:[0,1]
	s_mov_b32 s20, 0x3f06c442
	v_pk_add_f32 v[92:93], v[120:121], v[92:93]
	s_mov_b32 s9, 0xbeb8f4ab
	v_pk_fma_f32 v[110:111], v[82:83], s[34:35], v[108:109] op_sel:[1,0,0]
	s_mov_b32 s36, s14
	s_mov_b32 s37, s6
	v_pk_mul_f32 v[112:113], v[94:95], s[20:21] op_sel_hi:[0,1]
	s_mov_b32 s8, s27
	v_pk_add_f32 v[92:93], v[92:93], v[106:107]
	s_mov_b32 s13, 0x3f6eb680
	s_mov_b32 s22, 0x3f65296c
	v_pk_fma_f32 v[114:115], v[84:85], s[36:37], v[112:113] op_sel:[1,0,0]
	s_mov_b32 s12, s16
	v_pk_mul_f32 v[116:117], v[90:91], s[8:9] op_sel_hi:[0,1]
	v_pk_add_f32 v[92:93], v[92:93], v[110:111]
	s_mov_b32 s23, s11
	v_pk_fma_f32 v[68:69], v[36:37], s[38:39], v[68:69] op_sel:[1,0,0] neg_lo:[0,0,1] neg_hi:[0,0,1]
	v_pk_fma_f32 v[118:119], v[86:87], s[12:13], v[116:117] op_sel:[1,0,0]
	v_pk_add_f32 v[92:93], v[92:93], v[114:115]
	s_mov_b32 s40, s2
	s_mov_b32 s41, s10
	v_pk_mul_f32 v[106:107], v[88:89], s[22:23] op_sel_hi:[0,1]
	v_pk_fma_f32 v[70:71], v[72:73], s[28:29], v[70:71] op_sel:[1,0,0] neg_lo:[0,0,1] neg_hi:[0,0,1]
	v_pk_add_f32 v[68:69], v[4:5], v[68:69] op_sel:[1,0]
	s_mov_b32 s24, 0x3eb8f4ab
	v_pk_add_f32 v[92:93], v[92:93], v[118:119]
	v_pk_fma_f32 v[110:111], v[80:81], s[40:41], v[106:107] op_sel:[1,0,0]
	s_mov_b32 s25, s15
	v_pk_fma_f32 v[104:105], v[78:79], s[30:31], v[104:105] op_sel:[1,0,0] neg_lo:[0,0,1] neg_hi:[0,0,1]
	v_pk_add_f32 v[68:69], v[68:69], v[70:71]
	v_pk_add_f32 v[92:93], v[92:93], v[110:111]
	s_mov_b32 s42, s13
	s_mov_b32 s43, s14
	v_pk_mul_f32 v[110:111], v[76:77], s[24:25] op_sel_hi:[0,1]
	v_pk_fma_f32 v[108:109], v[82:83], s[34:35], v[108:109] op_sel:[1,0,0] neg_lo:[0,0,1] neg_hi:[0,0,1]
	v_pk_add_f32 v[68:69], v[68:69], v[104:105]
	v_pk_fma_f32 v[114:115], v[74:75], s[42:43], v[110:111] op_sel:[1,0,0]
	v_pk_fma_f32 v[112:113], v[84:85], s[36:37], v[112:113] op_sel:[1,0,0] neg_lo:[0,0,1] neg_hi:[0,0,1]
	v_pk_add_f32 v[68:69], v[68:69], v[108:109]
	v_pk_add_f32 v[92:93], v[92:93], v[114:115]
	v_pk_fma_f32 v[114:115], v[86:87], s[12:13], v[116:117] op_sel:[1,0,0] neg_lo:[0,0,1] neg_hi:[0,0,1]
	v_pk_add_f32 v[68:69], v[68:69], v[112:113]
	v_pk_fma_f32 v[70:71], v[80:81], s[40:41], v[106:107] op_sel:[1,0,0] neg_lo:[0,0,1] neg_hi:[0,0,1]
	v_pk_add_f32 v[68:69], v[68:69], v[114:115]
	s_mov_b32 s28, s11
	v_pk_add_f32 v[68:69], v[68:69], v[70:71]
	v_pk_fma_f32 v[70:71], v[74:75], s[42:43], v[110:111] op_sel:[1,0,0] neg_lo:[0,0,1] neg_hi:[0,0,1]
	s_mov_b32 s29, s17
	v_pk_add_f32 v[68:69], v[68:69], v[70:71]
	v_pk_mul_f32 v[70:71], v[98:99], s[28:29] op_sel_hi:[0,1]
	s_mov_b32 s30, s5
	s_mov_b32 s31, s20
	;; [unrolled: 1-line block ×6, first 2 shown]
	v_pk_mul_f32 v[104:105], v[100:101], s[30:31] op_sel_hi:[0,1]
	s_mov_b32 s20, s27
	v_pk_fma_f32 v[124:125], v[36:37], s[40:41], v[70:71] op_sel:[1,0,0]
	v_pk_fma_f32 v[106:107], v[72:73], s[28:29], v[104:105] op_sel:[1,0,0]
	s_mov_b32 s30, s16
	s_mov_b32 s31, s6
	v_pk_mul_f32 v[108:109], v[102:103], s[20:21] op_sel_hi:[0,1]
	s_mov_b32 s25, s3
	v_pk_add_f32 v[124:125], v[4:5], v[124:125] op_sel:[1,0]
	v_pk_fma_f32 v[110:111], v[78:79], s[30:31], v[108:109] op_sel:[1,0,0]
	s_mov_b32 s34, s13
	s_mov_b32 s35, s2
	v_pk_mul_f32 v[112:113], v[96:97], s[24:25] op_sel_hi:[0,1]
	s_mov_b32 s36, s3
	s_mov_b32 s37, s5
	v_pk_add_f32 v[106:107], v[124:125], v[106:107]
	v_pk_fma_f32 v[114:115], v[82:83], s[34:35], v[112:113] op_sel:[1,0,0]
	s_mov_b32 s24, s2
	s_mov_b32 s25, s4
	v_pk_mul_f32 v[116:117], v[94:95], s[36:37] op_sel_hi:[0,1]
	s_mov_b32 s39, 0x3f7ee86f
	s_mov_b32 s38, s15
	v_pk_add_f32 v[106:107], v[106:107], v[110:111]
	v_pk_fma_f32 v[118:119], v[84:85], s[24:25], v[116:117] op_sel:[1,0,0]
	s_mov_b32 s36, s14
	s_mov_b32 s37, s10
	v_pk_mul_f32 v[120:121], v[90:91], s[38:39] op_sel_hi:[0,1]
	v_pk_add_f32 v[106:107], v[106:107], v[114:115]
	s_mov_b32 s8, 0x3f4c4adb
	v_pk_fma_f32 v[70:71], v[36:37], s[40:41], v[70:71] op_sel:[1,0,0] neg_lo:[0,0,1] neg_hi:[0,0,1]
	v_pk_fma_f32 v[122:123], v[86:87], s[36:37], v[120:121] op_sel:[1,0,0]
	v_pk_add_f32 v[106:107], v[106:107], v[118:119]
	s_mov_b32 s12, s18
	v_pk_mul_f32 v[110:111], v[88:89], s[8:9] op_sel_hi:[0,1]
	v_pk_fma_f32 v[104:105], v[72:73], s[28:29], v[104:105] op_sel:[1,0,0] neg_lo:[0,0,1] neg_hi:[0,0,1]
	v_pk_add_f32 v[70:71], v[4:5], v[70:71] op_sel:[1,0]
	v_pk_add_f32 v[106:107], v[106:107], v[122:123]
	v_pk_fma_f32 v[114:115], v[80:81], s[12:13], v[110:111] op_sel:[1,0,0]
	s_mov_b32 s44, s21
	s_mov_b32 s45, s19
	v_pk_fma_f32 v[108:109], v[78:79], s[30:31], v[108:109] op_sel:[1,0,0] neg_lo:[0,0,1] neg_hi:[0,0,1]
	v_pk_add_f32 v[70:71], v[70:71], v[104:105]
	v_pk_add_f32 v[106:107], v[106:107], v[114:115]
	s_mov_b32 s42, s6
	s_mov_b32 s43, s18
	v_pk_mul_f32 v[114:115], v[76:77], s[44:45] op_sel_hi:[0,1]
	v_pk_fma_f32 v[112:113], v[82:83], s[34:35], v[112:113] op_sel:[1,0,0] neg_lo:[0,0,1] neg_hi:[0,0,1]
	v_pk_add_f32 v[70:71], v[70:71], v[108:109]
	v_pk_fma_f32 v[118:119], v[74:75], s[42:43], v[114:115] op_sel:[1,0,0]
	v_pk_fma_f32 v[116:117], v[84:85], s[24:25], v[116:117] op_sel:[1,0,0] neg_lo:[0,0,1] neg_hi:[0,0,1]
	v_pk_add_f32 v[70:71], v[70:71], v[112:113]
	v_pk_add_f32 v[106:107], v[106:107], v[118:119]
	v_pk_fma_f32 v[118:119], v[86:87], s[36:37], v[120:121] op_sel:[1,0,0] neg_lo:[0,0,1] neg_hi:[0,0,1]
	v_pk_add_f32 v[70:71], v[70:71], v[116:117]
	s_mov_b32 s24, s19
	s_mov_b32 s25, s15
	v_pk_add_f32 v[70:71], v[70:71], v[118:119]
	v_pk_fma_f32 v[104:105], v[80:81], s[12:13], v[110:111] op_sel:[1,0,0] neg_lo:[0,0,1] neg_hi:[0,0,1]
	v_pk_mul_f32 v[98:99], v[98:99], s[24:25] op_sel_hi:[0,1]
	s_mov_b32 s26, s27
	s_mov_b32 s27, s22
	;; [unrolled: 1-line block ×3, first 2 shown]
	v_mul_f32_e32 v12, 0x3eb8f4ab, v100
	v_pk_add_f32 v[70:71], v[70:71], v[104:105]
	v_pk_fma_f32 v[104:105], v[74:75], s[42:43], v[114:115] op_sel:[1,0,0] neg_lo:[0,0,1] neg_hi:[0,0,1]
	s_mov_b32 s24, s16
	s_mov_b32 s25, s2
	v_pk_mul_f32 v[100:101], v[100:101], s[26:27] op_sel_hi:[0,1]
	s_mov_b32 s28, s9
	s_mov_b32 s29, s11
	v_pk_fma_f32 v[116:117], v[36:37], s[18:19], v[98:99] op_sel:[1,0,0]
	v_mul_f32_e32 v16, 0xbf06c442, v102
	v_mul_f32_e32 v34, 0xbf7ba420, v37
	v_pk_add_f32 v[70:71], v[70:71], v[104:105]
	v_pk_fma_f32 v[104:105], v[72:73], s[24:25], v[100:101] op_sel:[1,0,0]
	s_mov_b32 s26, s13
	s_mov_b32 s27, s10
	v_pk_mul_f32 v[102:103], v[102:103], s[28:29] op_sel_hi:[0,1]
	s_mov_b32 s30, s15
	s_mov_b32 s31, s8
	v_pk_add_f32 v[116:117], v[4:5], v[116:117] op_sel:[1,0]
	v_pk_fma_f32 v[36:37], v[36:37], s[18:19], v[98:99] op_sel:[1,0,0] neg_lo:[0,0,1] neg_hi:[0,0,1]
	v_mul_f32_e32 v10, 0x3f6eb680, v73
	v_mul_f32_e32 v20, 0x3f2c7751, v96
	v_pk_fma_f32 v[108:109], v[78:79], s[26:27], v[102:103] op_sel:[1,0,0]
	s_mov_b32 s28, s14
	s_mov_b32 s29, s18
	v_pk_mul_f32 v[96:97], v[96:97], s[30:31] op_sel_hi:[0,1]
	s_mov_b32 s8, s39
	v_pk_add_f32 v[104:105], v[116:117], v[104:105]
	v_pk_fma_f32 v[72:73], v[72:73], s[24:25], v[100:101] op_sel:[1,0,0] neg_lo:[0,0,1] neg_hi:[0,0,1]
	v_pk_add_f32 v[36:37], v[4:5], v[36:37] op_sel:[1,0]
	v_mul_f32_e32 v14, 0xbf59a7d5, v79
	v_mul_f32_e32 v26, 0xbf4c4adb, v94
	v_pk_fma_f32 v[110:111], v[82:83], s[28:29], v[96:97] op_sel:[1,0,0]
	s_mov_b32 s11, s13
	v_pk_mul_f32 v[94:95], v[94:95], s[8:9] op_sel_hi:[0,1]
	s_mov_b32 s12, s7
	s_mov_b32 s13, s5
	v_pk_add_f32 v[104:105], v[104:105], v[108:109]
	v_pk_fma_f32 v[78:79], v[78:79], s[26:27], v[102:103] op_sel:[1,0,0] neg_lo:[0,0,1] neg_hi:[0,0,1]
	v_pk_add_f32 v[36:37], v[36:37], v[72:73]
	v_mul_f32_e32 v18, 0x3f3d2fb0, v83
	v_pk_fma_f32 v[112:113], v[84:85], s[10:11], v[94:95] op_sel:[1,0,0]
	s_mov_b32 s8, s6
	s_mov_b32 s9, s4
	v_pk_mul_f32 v[90:91], v[90:91], s[12:13] op_sel_hi:[0,1]
	v_pk_add_f32 v[104:105], v[104:105], v[110:111]
	s_mov_b32 s20, s5
	v_pk_fma_f32 v[82:83], v[82:83], s[28:29], v[96:97] op_sel:[1,0,0] neg_lo:[0,0,1] neg_hi:[0,0,1]
	v_pk_add_f32 v[36:37], v[36:37], v[78:79]
	v_mul_f32_e32 v24, 0xbf1a4643, v85
	v_mul_f32_e32 v32, 0xbf763a35, v88
	v_pk_fma_f32 v[114:115], v[86:87], s[8:9], v[90:91] op_sel:[1,0,0]
	v_pk_add_f32 v[104:105], v[104:105], v[112:113]
	s_mov_b32 s12, s4
	s_mov_b32 s13, s6
	v_pk_mul_f32 v[88:89], v[88:89], s[20:21] op_sel_hi:[0,1]
	v_pk_fma_f32 v[84:85], v[84:85], s[10:11], v[94:95] op_sel:[1,0,0] neg_lo:[0,0,1] neg_hi:[0,0,1]
	v_pk_add_f32 v[36:37], v[36:37], v[82:83]
	v_mul_f32_e32 v28, 0x3ee437d1, v87
	v_pk_add_f32 v[104:105], v[104:105], v[114:115]
	v_pk_fma_f32 v[108:109], v[80:81], s[12:13], v[88:89] op_sel:[1,0,0]
	s_mov_b32 s23, s17
	v_pk_fma_f32 v[86:87], v[86:87], s[8:9], v[90:91] op_sel:[1,0,0] neg_lo:[0,0,1] neg_hi:[0,0,1]
	v_pk_add_f32 v[36:37], v[36:37], v[84:85]
	v_pk_add_f32 v[104:105], v[104:105], v[108:109]
	s_mov_b32 s3, s16
	v_pk_mul_f32 v[108:109], v[76:77], s[22:23] op_sel_hi:[0,1]
	v_pk_add_f32 v[36:37], v[36:37], v[86:87]
	v_pk_fma_f32 v[72:73], v[80:81], s[12:13], v[88:89] op_sel:[1,0,0] neg_lo:[0,0,1] neg_hi:[0,0,1]
	v_add_f32_e32 v21, v11, v9
	v_pk_fma_f32 v[110:111], v[74:75], s[2:3], v[108:109] op_sel:[1,0,0]
	v_pk_add_f32 v[36:37], v[36:37], v[72:73]
	v_pk_fma_f32 v[72:73], v[74:75], s[2:3], v[108:109] op_sel:[1,0,0] neg_lo:[0,0,1] neg_hi:[0,0,1]
	v_mul_f32_e32 v62, 0x3dbcf732, v75
	v_pk_add_f32 v[74:75], v[10:11], v[12:13]
	v_pk_add_f32 v[10:11], v[10:11], v[12:13] neg_lo:[0,1] neg_hi:[0,1]
	v_pk_add_f32 v[12:13], v[14:15], v[16:17] neg_lo:[0,1] neg_hi:[0,1]
	v_mov_b32_e32 v75, v10
	v_pk_add_f32 v[10:11], v[14:15], v[16:17]
	v_pk_add_f32 v[14:15], v[18:19], v[20:21] neg_lo:[0,1] neg_hi:[0,1]
	v_mov_b32_e32 v11, v12
	v_pk_add_f32 v[12:13], v[18:19], v[20:21]
	;; [unrolled: 3-line block ×4, first 2 shown]
	v_mul_f32_e32 v22, 0xbe8c1d8e, v81
	v_mov_b32_e32 v17, v18
	v_pk_add_f32 v[18:19], v[34:35], v[8:9]
	v_pk_add_f32 v[8:9], v[34:35], v[8:9] neg_lo:[0,1] neg_hi:[0,1]
	v_pk_add_f32 v[36:37], v[36:37], v[72:73]
	v_mov_b32_e32 v19, v8
	v_pk_add_f32 v[4:5], v[4:5], v[18:19] op_sel:[1,0]
	v_pk_add_f32 v[8:9], v[22:23], v[32:33]
	v_pk_add_f32 v[4:5], v[4:5], v[74:75]
	v_mul_f32_e32 v72, 0x3f7ee86f, v76
	v_pk_add_f32 v[4:5], v[4:5], v[10:11]
	v_pk_add_f32 v[10:11], v[22:23], v[32:33] neg_lo:[0,1] neg_hi:[0,1]
	v_pk_add_f32 v[4:5], v[4:5], v[12:13]
	v_mov_b32_e32 v9, v10
	v_pk_add_f32 v[4:5], v[4:5], v[14:15]
	v_pk_add_f32 v[10:11], v[62:63], v[72:73] neg_lo:[0,1] neg_hi:[0,1]
	v_pk_add_f32 v[4:5], v[4:5], v[16:17]
	v_pk_add_f32 v[104:105], v[104:105], v[110:111]
	;; [unrolled: 1-line block ×4, first 2 shown]
	s_nop 0
	v_mov_b32_e32 v9, v10
	v_pk_add_f32 v[4:5], v[4:5], v[8:9]
	v_mul_u32_u24_e32 v8, 0x44, v60
	v_add3_u32 v8, 0, v8, v65
	ds_write2_b32 v8, v6, v7 offset1:1
	ds_write2_b32 v8, v92, v93 offset0:2 offset1:3
	ds_write2_b32 v8, v106, v107 offset0:4 offset1:5
	;; [unrolled: 1-line block ×7, first 2 shown]
	ds_write_b32 v8, v21 offset:64
.LBB0_16:
	s_or_b64 exec, exec, s[0:1]
	v_add_u32_e32 v62, 34, v0
	s_movk_i32 s0, 0xf1
	v_mul_lo_u16_sdwa v11, v62, s0 dst_sel:DWORD dst_unused:UNUSED_PAD src0_sel:BYTE_0 src1_sel:DWORD
	v_readlane_b32 s4, v194, 0
	v_lshrrev_b16_e32 v11, 12, v11
	v_lshlrev_b32_e32 v4, 1, v0
	v_mov_b32_e32 v5, 0
	v_readlane_b32 s5, v194, 1
	v_add_u16_e32 v10, 51, v0
	v_mul_lo_u16_e32 v11, 17, v11
	v_lshl_add_u64 v[6:7], v[4:5], 3, s[4:5]
	v_mov_b32_e32 v4, 4
	v_mul_lo_u16_sdwa v12, v10, s0 dst_sel:DWORD dst_unused:UNUSED_PAD src0_sel:BYTE_0 src1_sel:DWORD
	v_sub_u16_e32 v86, v62, v11
	v_lshrrev_b16_e32 v12, 12, v12
	v_lshlrev_b32_sdwa v11, v4, v86 dst_sel:DWORD dst_unused:UNUSED_PAD src0_sel:DWORD src1_sel:BYTE_0
	s_waitcnt lgkmcnt(0)
	; wave barrier
	s_waitcnt lgkmcnt(0)
	global_load_dwordx4 v[14:17], v11, s[4:5]
	v_mul_lo_u16_e32 v11, 17, v12
	v_sub_u16_e32 v87, v10, v11
	v_lshlrev_b32_sdwa v10, v4, v87 dst_sel:DWORD dst_unused:UNUSED_PAD src0_sel:DWORD src1_sel:BYTE_0
	global_load_dwordx4 v[18:21], v10, s[4:5]
	v_add_u16_e32 v10, 0x44, v0
	v_mul_lo_u16_sdwa v11, v10, s0 dst_sel:DWORD dst_unused:UNUSED_PAD src0_sel:BYTE_0 src1_sel:DWORD
	v_lshrrev_b16_e32 v11, 12, v11
	v_mul_lo_u16_e32 v11, 17, v11
	v_sub_u16_e32 v88, v10, v11
	v_lshlrev_b32_sdwa v10, v4, v88 dst_sel:DWORD dst_unused:UNUSED_PAD src0_sel:DWORD src1_sel:BYTE_0
	global_load_dwordx4 v[34:37], v10, s[4:5]
	v_add_u16_e32 v10, 0x55, v0
	v_mul_lo_u16_sdwa v11, v10, s0 dst_sel:DWORD dst_unused:UNUSED_PAD src0_sel:BYTE_0 src1_sel:DWORD
	v_lshrrev_b16_e32 v11, 12, v11
	;; [unrolled: 7-line block ×3, first 2 shown]
	global_load_dwordx4 v[6:9], v[6:7], off
	v_mul_lo_u16_e32 v11, 17, v11
	v_sub_u16_e32 v90, v10, v11
	v_lshlrev_b32_sdwa v10, v4, v90 dst_sel:DWORD dst_unused:UNUSED_PAD src0_sel:DWORD src1_sel:BYTE_0
	global_load_dwordx4 v[72:75], v10, s[4:5]
	v_add_u16_e32 v10, 0x77, v0
	v_mul_lo_u16_sdwa v11, v10, s0 dst_sel:DWORD dst_unused:UNUSED_PAD src0_sel:BYTE_0 src1_sel:DWORD
	v_lshrrev_b16_e32 v11, 12, v11
	v_mul_lo_u16_e32 v11, 17, v11
	v_sub_u16_e32 v91, v10, v11
	v_lshlrev_b32_sdwa v4, v4, v91 dst_sel:DWORD dst_unused:UNUSED_PAD src0_sel:DWORD src1_sel:BYTE_0
	global_load_dwordx4 v[76:79], v4, s[4:5]
	ds_read2_b32 v[24:25], v61 offset0:119 offset1:136
	ds_read2_b32 v[10:11], v64 offset0:127 offset1:144
	;; [unrolled: 1-line block ×11, first 2 shown]
	ds_read_b32 v4, v1
	ds_read_b32 v92, v61 offset:1564
	s_waitcnt lgkmcnt(0)
	; wave barrier
	s_waitcnt lgkmcnt(0)
	v_readlane_b32 s2, v194, 4
	v_readlane_b32 s3, v194, 5
	;; [unrolled: 1-line block ×4, first 2 shown]
	s_waitcnt vmcnt(2)
	v_mul_f32_e32 v93, v25, v7
	v_mul_f32_e32 v94, v39, v7
	;; [unrolled: 1-line block ×8, first 2 shown]
	v_fma_f32 v39, v39, v6, -v93
	v_fmac_f32_e32 v94, v25, v6
	v_fma_f32 v25, v47, v8, -v95
	v_fmac_f32_e32 v96, v11, v8
	;; [unrolled: 2-line block ×4, first 2 shown]
	v_mul_f32_e32 v8, v23, v15
	v_mul_f32_e32 v15, v57, v15
	;; [unrolled: 1-line block ×6, first 2 shown]
	v_fma_f32 v8, v57, v14, -v8
	v_fmac_f32_e32 v15, v23, v14
	v_fma_f32 v14, v59, v16, -v22
	v_fmac_f32_e32 v17, v27, v16
	;; [unrolled: 2-line block ×3, first 2 shown]
	v_mul_f32_e32 v18, v80, v21
	v_mul_f32_e32 v21, v52, v21
	v_fma_f32 v18, v52, v20, -v18
	v_fmac_f32_e32 v21, v80, v20
	v_mul_f32_e32 v20, v31, v35
	v_mul_f32_e32 v22, v55, v35
	;; [unrolled: 1-line block ×4, first 2 shown]
	s_waitcnt vmcnt(1)
	v_mul_f32_e32 v35, v83, v73
	v_fma_f32 v23, v53, v36, -v23
	v_fmac_f32_e32 v26, v81, v36
	v_mul_f32_e32 v27, v82, v69
	v_fma_f32 v35, v51, v72, -v35
	v_mul_f32_e32 v36, v51, v73
	v_add_f32_e32 v51, v39, v25
	v_fma_f32 v27, v50, v68, -v27
	v_mul_f32_e32 v30, v50, v69
	v_add_f32_e32 v50, v66, v39
	v_fmac_f32_e32 v66, -0.5, v51
	v_sub_f32_e32 v51, v94, v96
	v_add_f32_e32 v53, v94, v96
	v_add_f32_e32 v50, v50, v25
	v_fmamk_f32 v52, v51, 0x3f5db3d7, v66
	v_fmac_f32_e32 v66, 0xbf5db3d7, v51
	v_add_f32_e32 v51, v4, v94
	v_fmac_f32_e32 v4, -0.5, v53
	v_sub_f32_e32 v25, v39, v25
	v_add_f32_e32 v53, v11, v6
	v_fmamk_f32 v39, v25, 0xbf5db3d7, v4
	v_fmac_f32_e32 v4, 0x3f5db3d7, v25
	v_add_f32_e32 v25, v44, v11
	v_fma_f32 v44, -0.5, v53, v44
	v_sub_f32_e32 v53, v7, v9
	v_fmamk_f32 v54, v53, 0x3f5db3d7, v44
	v_fmac_f32_e32 v44, 0xbf5db3d7, v53
	v_add_f32_e32 v53, v32, v7
	v_add_f32_e32 v7, v7, v9
	v_add_f32_e32 v25, v25, v6
	v_fma_f32 v32, -0.5, v7, v32
	v_sub_f32_e32 v6, v11, v6
	v_add_f32_e32 v7, v8, v14
	v_fma_f32 v20, v55, v34, -v20
	v_fmamk_f32 v55, v6, 0xbf5db3d7, v32
	v_fmac_f32_e32 v32, 0x3f5db3d7, v6
	v_add_f32_e32 v6, v45, v8
	v_fmac_f32_e32 v45, -0.5, v7
	v_sub_f32_e32 v7, v15, v17
	v_add_f32_e32 v53, v53, v9
	v_fmamk_f32 v9, v7, 0x3f5db3d7, v45
	v_fmac_f32_e32 v45, 0xbf5db3d7, v7
	v_add_f32_e32 v7, v33, v15
	v_add_f32_e32 v56, v7, v17
	;; [unrolled: 1-line block ×3, first 2 shown]
	v_fmac_f32_e32 v33, -0.5, v7
	v_sub_f32_e32 v7, v8, v14
	v_add_f32_e32 v8, v16, v18
	v_fma_f32 v8, -0.5, v8, v42
	v_sub_f32_e32 v11, v19, v21
	v_add_f32_e32 v6, v6, v14
	v_fmamk_f32 v14, v11, 0x3f5db3d7, v8
	v_fmac_f32_e32 v8, 0xbf5db3d7, v11
	v_add_f32_e32 v11, v28, v19
	v_fmamk_f32 v57, v7, 0xbf5db3d7, v33
	v_fmac_f32_e32 v33, 0x3f5db3d7, v7
	v_add_f32_e32 v7, v42, v16
	v_add_f32_e32 v42, v11, v21
	;; [unrolled: 1-line block ×3, first 2 shown]
	v_fmac_f32_e32 v22, v31, v34
	v_mul_f32_e32 v31, v84, v71
	v_fma_f32 v28, -0.5, v11, v28
	v_sub_f32_e32 v11, v16, v18
	v_add_f32_e32 v15, v20, v23
	v_fma_f32 v31, v48, v70, -v31
	v_mul_f32_e32 v34, v48, v71
	v_fmamk_f32 v58, v11, 0xbf5db3d7, v28
	v_fmac_f32_e32 v28, 0x3f5db3d7, v11
	v_add_f32_e32 v11, v43, v20
	v_fmac_f32_e32 v43, -0.5, v15
	v_sub_f32_e32 v15, v22, v26
	v_fmac_f32_e32 v30, v82, v68
	v_fmac_f32_e32 v34, v84, v70
	s_waitcnt vmcnt(0)
	v_mul_f32_e32 v48, v10, v77
	v_fmamk_f32 v16, v15, 0x3f5db3d7, v43
	v_fmac_f32_e32 v43, 0xbf5db3d7, v15
	v_add_f32_e32 v15, v29, v22
	v_add_f32_e32 v17, v27, v31
	v_fma_f32 v48, v46, v76, -v48
	v_mul_f32_e32 v46, v46, v77
	v_add_f32_e32 v7, v7, v18
	v_add_f32_e32 v59, v15, v26
	;; [unrolled: 1-line block ×3, first 2 shown]
	v_fma_f32 v17, -0.5, v17, v40
	v_sub_f32_e32 v18, v30, v34
	v_mul_f32_e32 v37, v85, v75
	v_fmac_f32_e32 v46, v10, v76
	v_mul_f32_e32 v10, v92, v79
	v_fmac_f32_e32 v29, -0.5, v15
	v_sub_f32_e32 v15, v20, v23
	v_fmamk_f32 v19, v18, 0x3f5db3d7, v17
	v_fmac_f32_e32 v17, 0xbf5db3d7, v18
	v_add_f32_e32 v18, v12, v30
	v_fma_f32 v37, v49, v74, -v37
	v_mul_f32_e32 v47, v49, v75
	v_fma_f32 v10, v67, v78, -v10
	v_mul_f32_e32 v49, v67, v79
	v_fmamk_f32 v67, v15, 0xbf5db3d7, v29
	v_fmac_f32_e32 v29, 0x3f5db3d7, v15
	v_add_f32_e32 v15, v40, v27
	v_add_f32_e32 v40, v18, v34
	;; [unrolled: 1-line block ×3, first 2 shown]
	v_fmac_f32_e32 v36, v83, v72
	v_fmac_f32_e32 v47, v85, v74
	v_fma_f32 v34, -0.5, v18, v12
	v_sub_f32_e32 v12, v27, v31
	v_add_f32_e32 v18, v35, v37
	v_fmamk_f32 v68, v12, 0xbf5db3d7, v34
	v_fmac_f32_e32 v34, 0x3f5db3d7, v12
	v_add_f32_e32 v12, v41, v35
	v_fmac_f32_e32 v41, -0.5, v18
	v_sub_f32_e32 v18, v36, v47
	v_fmamk_f32 v20, v18, 0x3f5db3d7, v41
	v_fmac_f32_e32 v41, 0xbf5db3d7, v18
	v_add_f32_e32 v18, v13, v36
	v_add_f32_e32 v69, v18, v47
	;; [unrolled: 1-line block ×3, first 2 shown]
	v_fmac_f32_e32 v49, v92, v78
	v_fmac_f32_e32 v13, -0.5, v18
	v_sub_f32_e32 v18, v35, v37
	v_add_f32_e32 v21, v48, v10
	v_fmamk_f32 v35, v18, 0xbf5db3d7, v13
	v_fmac_f32_e32 v13, 0x3f5db3d7, v18
	v_add_f32_e32 v18, v38, v48
	v_fmac_f32_e32 v38, -0.5, v21
	v_sub_f32_e32 v21, v46, v49
	v_fmamk_f32 v22, v21, 0x3f5db3d7, v38
	v_fmac_f32_e32 v38, 0xbf5db3d7, v21
	v_add_f32_e32 v21, v24, v46
	v_add_f32_e32 v36, v21, v49
	;; [unrolled: 1-line block ×4, first 2 shown]
	v_fmac_f32_e32 v24, -0.5, v21
	v_sub_f32_e32 v10, v48, v10
	v_add_f32_e32 v12, v12, v37
	v_fmamk_f32 v37, v10, 0xbf5db3d7, v24
	v_fmac_f32_e32 v24, 0x3f5db3d7, v10
	v_mov_b32_e32 v10, 2
	v_lshlrev_b32_sdwa v21, v10, v86 dst_sel:DWORD dst_unused:UNUSED_PAD src0_sel:DWORD src1_sel:BYTE_0
	ds_write2_b32 v61, v50, v52 offset1:17
	ds_write2_b32 v61, v66, v25 offset0:34 offset1:51
	ds_write2_b32 v61, v54, v44 offset0:68 offset1:85
	v_add3_u32 v25, 0, v21, v65
	ds_write2_b32 v25, v6, v9 offset0:102 offset1:119
	ds_write_b32 v25, v45 offset:544
	v_lshlrev_b32_sdwa v6, v10, v87 dst_sel:DWORD dst_unused:UNUSED_PAD src0_sel:DWORD src1_sel:BYTE_0
	v_add3_u32 v44, 0, v6, v65
	v_lshlrev_b32_sdwa v6, v10, v88 dst_sel:DWORD dst_unused:UNUSED_PAD src0_sel:DWORD src1_sel:BYTE_0
	v_add_f32_e32 v11, v11, v23
	v_add3_u32 v45, 0, v6, v65
	v_lshlrev_b32_sdwa v6, v10, v89 dst_sel:DWORD dst_unused:UNUSED_PAD src0_sel:DWORD src1_sel:BYTE_0
	ds_write2_b32 v44, v7, v14 offset0:153 offset1:170
	ds_write_b32 v44, v8 offset:748
	ds_write2_b32 v45, v11, v16 offset0:204 offset1:221
	ds_write_b32 v45, v43 offset:952
	v_add3_u32 v43, 0, v6, v65
	v_lshlrev_b32_sdwa v6, v10, v90 dst_sel:DWORD dst_unused:UNUSED_PAD src0_sel:DWORD src1_sel:BYTE_0
	v_add3_u32 v49, 0, v6, v65
	v_add_f32_e32 v15, v15, v31
	v_add_u32_e32 v48, 0x200, v43
	v_add_u32_e32 v50, 0x400, v49
	v_lshlrev_b32_sdwa v6, v10, v91 dst_sel:DWORD dst_unused:UNUSED_PAD src0_sel:DWORD src1_sel:BYTE_0
	ds_write2_b32 v48, v15, v19 offset0:127 offset1:144
	ds_write_b32 v43, v17 offset:1156
	ds_write2_b32 v50, v12, v20 offset0:50 offset1:67
	ds_write_b32 v49, v41 offset:1360
	v_add3_u32 v41, 0, v6, v65
	v_add_u32_e32 v52, 0x400, v41
	ds_write2_b32 v52, v18, v22 offset0:101 offset1:118
	ds_write_b32 v41, v38 offset:1564
	s_waitcnt lgkmcnt(0)
	; wave barrier
	s_waitcnt lgkmcnt(0)
	ds_read2_b32 v[22:23], v61 offset0:51 offset1:68
	ds_read2_b32 v[6:7], v61 offset0:85 offset1:102
	;; [unrolled: 1-line block ×11, first 2 shown]
	ds_read_b32 v54, v1
	ds_read_b32 v12, v61 offset:1564
	v_add_f32_e32 v51, v51, v96
	s_waitcnt lgkmcnt(0)
	; wave barrier
	s_waitcnt lgkmcnt(0)
	ds_write2_b32 v61, v51, v39 offset1:17
	ds_write2_b32 v61, v4, v53 offset0:34 offset1:51
	ds_write2_b32 v61, v55, v32 offset0:68 offset1:85
	;; [unrolled: 1-line block ×3, first 2 shown]
	ds_write_b32 v25, v33 offset:544
	ds_write2_b32 v44, v42, v58 offset0:153 offset1:170
	ds_write_b32 v44, v28 offset:748
	ds_write2_b32 v45, v59, v67 offset0:204 offset1:221
	;; [unrolled: 2-line block ×5, first 2 shown]
	ds_write_b32 v41, v24 offset:1564
	s_waitcnt lgkmcnt(0)
	; wave barrier
	s_waitcnt lgkmcnt(0)
	s_and_saveexec_b64 s[0:1], s[2:3]
	s_cbranch_execz .LBB0_18
; %bb.17:
	v_mul_u32_u24_e32 v4, 7, v0
	v_lshlrev_b32_e32 v4, 3, v4
	global_load_dwordx4 v[64:67], v4, s[4:5] offset:288
	global_load_dwordx4 v[68:71], v4, s[4:5] offset:272
	;; [unrolled: 1-line block ×3, first 2 shown]
	global_load_dwordx2 v[58:59], v4, s[4:5] offset:320
	v_mul_u32_u24_e32 v4, 7, v62
	v_mov_b32_e32 v33, 0xffffff89
	v_mov_b32_e32 v88, v7
	;; [unrolled: 1-line block ×3, first 2 shown]
	v_lshlrev_b32_e32 v7, 3, v4
	v_mad_u32_u24 v4, v62, 7, v33
	ds_read2_b32 v[38:39], v61 offset0:119 offset1:136
	v_add_u32_e32 v13, 0x400, v61
	ds_read2_b32 v[24:25], v61 offset0:17 offset1:34
	ds_read2_b32 v[40:41], v61 offset0:221 offset1:238
	;; [unrolled: 1-line block ×5, first 2 shown]
	v_add_u32_e32 v44, 0x200, v61
	ds_read2_b32 v[56:57], v61 offset0:153 offset1:170
	ds_read_b32 v32, v61 offset:1564
	ds_read_b32 v55, v1
	v_mov_b32_e32 v1, v5
	v_lshl_add_u64 v[96:97], v[4:5], 3, s[4:5]
	ds_read2_b32 v[42:43], v13 offset0:67 offset1:84
	ds_read2_b32 v[36:37], v13 offset0:33 offset1:50
	;; [unrolled: 1-line block ×4, first 2 shown]
	v_lshl_add_u64 v[44:45], v[0:1], 3, v[2:3]
	global_load_dwordx4 v[76:79], v[96:97], off offset:288
	global_load_dwordx4 v[80:83], v[96:97], off offset:272
	;; [unrolled: 1-line block ×3, first 2 shown]
	global_load_dwordx2 v[98:99], v[96:97], off offset:320
	s_waitcnt lgkmcnt(8)
	v_mov_b32_e32 v4, v35
	v_mov_b32_e32 v96, v29
	s_waitcnt lgkmcnt(2)
	v_mov_b32_e32 v100, v37
	v_mov_b32_e32 v84, v11
	;; [unrolled: 1-line block ×5, first 2 shown]
	s_mov_b32 s0, 0x3f3504f3
	s_waitcnt vmcnt(7)
	v_mov_b32_e32 v102, v67
	v_mov_b32_e32 v103, v66
	s_waitcnt vmcnt(6)
	v_pk_mul_f32 v[96:97], v[70:71], v[96:97] op_sel_hi:[1,0]
	s_waitcnt vmcnt(5)
	v_pk_mul_f32 v[100:101], v[74:75], v[100:101] op_sel_hi:[1,0]
	v_pk_mul_f32 v[104:105], v[56:57], v[64:65] op_sel:[0,1] op_sel_hi:[0,0]
	s_waitcnt vmcnt(4) lgkmcnt(0)
	v_pk_mul_f32 v[106:107], v[52:53], v[58:59] op_sel:[0,1] op_sel_hi:[0,0]
	v_pk_mul_f32 v[108:109], v[68:69], v[48:49] op_sel_hi:[1,0]
	v_pk_mul_f32 v[110:111], v[72:73], v[50:51] op_sel_hi:[1,0]
	;; [unrolled: 1-line block ×3, first 2 shown]
	v_pk_fma_f32 v[88:89], v[88:89], v[70:71], v[96:97] op_sel:[0,0,1] op_sel_hi:[1,1,0] neg_lo:[0,0,1] neg_hi:[0,0,1]
	v_pk_fma_f32 v[70:71], v[90:91], v[70:71], v[96:97] op_sel:[0,0,1] op_sel_hi:[0,1,0]
	v_pk_fma_f32 v[90:91], v[92:93], v[74:75], v[100:101] op_sel:[0,0,1] op_sel_hi:[1,1,0] neg_lo:[0,0,1] neg_hi:[0,0,1]
	v_pk_fma_f32 v[74:75], v[94:95], v[74:75], v[100:101] op_sel:[0,0,1] op_sel_hi:[0,1,0]
	v_pk_fma_f32 v[92:93], v[46:47], v[64:65], v[104:105] neg_lo:[0,0,1] neg_hi:[0,0,1]
	v_pk_fma_f32 v[64:65], v[46:47], v[64:65], v[104:105] op_sel_hi:[0,1,1]
	v_pk_fma_f32 v[94:95], v[30:31], v[58:59], v[106:107] neg_lo:[0,0,1] neg_hi:[0,0,1]
	v_pk_fma_f32 v[58:59], v[30:31], v[58:59], v[106:107] op_sel_hi:[0,1,1]
	v_pk_fma_f32 v[96:97], v[22:23], v[68:69], v[108:109] op_sel:[0,0,1] op_sel_hi:[1,1,0] neg_lo:[0,0,1] neg_hi:[0,0,1]
	v_pk_fma_f32 v[68:69], v[22:23], v[68:69], v[108:109] op_sel:[0,0,1] op_sel_hi:[0,1,0]
	v_pk_fma_f32 v[100:101], v[26:27], v[72:73], v[110:111] op_sel:[0,0,1] op_sel_hi:[1,1,0] neg_lo:[0,0,1] neg_hi:[0,0,1]
	v_pk_fma_f32 v[72:73], v[26:27], v[72:73], v[110:111] op_sel:[0,0,1] op_sel_hi:[0,1,0]
	v_pk_fma_f32 v[84:85], v[84:85], v[66:67], v[102:103] neg_lo:[0,0,1] neg_hi:[0,0,1]
	v_pk_fma_f32 v[66:67], v[86:87], v[66:67], v[102:103] op_sel_hi:[0,1,1]
	v_mov_b32_e32 v89, v71
	v_mov_b32_e32 v91, v75
	;; [unrolled: 1-line block ×7, first 2 shown]
	v_pk_add_f32 v[58:59], v[88:89], v[90:91] neg_lo:[0,1] neg_hi:[0,1]
	v_pk_add_f32 v[64:65], v[92:93], v[94:95] neg_lo:[0,1] neg_hi:[0,1]
	;; [unrolled: 1-line block ×4, first 2 shown]
	v_pk_fma_f32 v[70:71], v[88:89], 2.0, v[58:59] op_sel_hi:[1,0,1] neg_lo:[0,0,1] neg_hi:[0,0,1]
	v_pk_fma_f32 v[72:73], v[96:97], 2.0, v[66:67] op_sel_hi:[1,0,1] neg_lo:[0,0,1] neg_hi:[0,0,1]
	;; [unrolled: 1-line block ×3, first 2 shown]
	v_pk_add_f32 v[84:85], v[66:67], v[64:65] op_sel:[0,1] op_sel_hi:[1,0] neg_lo:[0,1] neg_hi:[0,1]
	v_pk_add_f32 v[64:65], v[66:67], v[64:65] op_sel:[0,1] op_sel_hi:[1,0]
	v_pk_fma_f32 v[54:55], v[54:55], 2.0, v[68:69] op_sel_hi:[1,0,1] neg_lo:[0,0,1] neg_hi:[0,0,1]
	v_pk_add_f32 v[74:75], v[72:73], v[74:75] neg_lo:[0,1] neg_hi:[0,1]
	v_mov_b32_e32 v85, v65
	v_pk_add_f32 v[64:65], v[54:55], v[70:71] neg_lo:[0,1] neg_hi:[0,1]
	v_pk_add_f32 v[86:87], v[68:69], v[58:59] op_sel:[0,1] op_sel_hi:[1,0] neg_lo:[0,1] neg_hi:[0,1]
	v_pk_add_f32 v[58:59], v[68:69], v[58:59] op_sel:[0,1] op_sel_hi:[1,0]
	v_pk_fma_f32 v[70:71], v[72:73], 2.0, v[74:75] op_sel_hi:[1,0,1] neg_lo:[0,0,1] neg_hi:[0,0,1]
	v_pk_fma_f32 v[54:55], v[54:55], 2.0, v[64:65] op_sel_hi:[1,0,1] neg_lo:[0,0,1] neg_hi:[0,0,1]
	v_mov_b32_e32 v87, v59
	v_pk_fma_f32 v[58:59], v[66:67], 2.0, v[84:85] op_sel_hi:[1,0,1] neg_lo:[0,0,1] neg_hi:[0,0,1]
	v_pk_add_f32 v[66:67], v[54:55], v[70:71] neg_lo:[0,1] neg_hi:[0,1]
	v_pk_fma_f32 v[68:69], v[68:69], 2.0, v[86:87] op_sel_hi:[1,0,1] neg_lo:[0,0,1] neg_hi:[0,0,1]
	v_pk_fma_f32 v[54:55], v[54:55], 2.0, v[66:67] op_sel_hi:[1,0,1] neg_lo:[0,0,1] neg_hi:[0,0,1]
	global_store_dwordx2 v[44:45], v[54:55], off
	v_pk_mul_f32 v[54:55], v[58:59], s[0:1] op_sel_hi:[1,0]
	v_pk_fma_f32 v[58:59], v[58:59], s[0:1], v[68:69] op_sel_hi:[1,0,1] neg_lo:[1,0,0] neg_hi:[1,0,0]
	s_nop 0
	v_pk_add_f32 v[70:71], v[58:59], v[54:55] op_sel:[0,1] op_sel_hi:[1,0] neg_lo:[0,1] neg_hi:[0,1]
	v_pk_add_f32 v[54:55], v[58:59], v[54:55] op_sel:[0,1] op_sel_hi:[1,0]
	v_pk_add_f32 v[58:59], v[64:65], v[74:75] op_sel:[0,1] op_sel_hi:[1,0]
	v_mov_b32_e32 v71, v55
	v_pk_fma_f32 v[54:55], v[68:69], 2.0, v[70:71] op_sel_hi:[1,0,1] neg_lo:[0,0,1] neg_hi:[0,0,1]
	global_store_dwordx2 v[44:45], v[54:55], off offset:408
	v_pk_add_f32 v[54:55], v[64:65], v[74:75] op_sel:[0,1] op_sel_hi:[1,0] neg_lo:[0,1] neg_hi:[0,1]
	s_nop 0
	v_mov_b32_e32 v55, v59
	v_pk_fma_f32 v[58:59], v[64:65], 2.0, v[54:55] op_sel_hi:[1,0,1] neg_lo:[0,0,1] neg_hi:[0,0,1]
	global_store_dwordx2 v[44:45], v[58:59], off offset:816
	v_pk_mul_f32 v[58:59], v[84:85], s[0:1] op_sel_hi:[1,0]
	v_pk_fma_f32 v[64:65], v[84:85], s[0:1], v[86:87] op_sel_hi:[1,0,1]
	s_mov_b32 s1, 0xa0a0a0a1
	v_pk_add_f32 v[68:69], v[64:65], v[58:59] op_sel:[0,1] op_sel_hi:[1,0] neg_lo:[0,1] neg_hi:[0,1]
	v_pk_add_f32 v[58:59], v[64:65], v[58:59] op_sel:[0,1] op_sel_hi:[1,0]
	v_mul_hi_u32 v4, v60, s1
	v_mov_b32_e32 v69, v59
	v_pk_fma_f32 v[58:59], v[86:87], 2.0, v[68:69] op_sel_hi:[1,0,1] neg_lo:[0,0,1] neg_hi:[0,0,1]
	global_store_dwordx2 v[44:45], v[58:59], off offset:1224
	global_store_dwordx2 v[44:45], v[66:67], off offset:1632
	;; [unrolled: 1-line block ×5, first 2 shown]
	s_waitcnt vmcnt(11)
	v_mov_b32_e32 v54, v79
	v_mov_b32_e32 v55, v78
	v_pk_mul_f32 v[54:55], v[40:41], v[54:55] op_sel_hi:[0,1]
	v_pk_fma_f32 v[58:59], v[20:21], v[78:79], v[54:55] neg_lo:[0,0,1] neg_hi:[0,0,1]
	v_pk_fma_f32 v[54:55], v[20:21], v[78:79], v[54:55] op_sel_hi:[0,1,1]
	v_mov_b32_e32 v59, v55
	s_waitcnt vmcnt(10)
	v_pk_mul_f32 v[54:55], v[82:83], v[38:39] op_sel_hi:[1,0]
	v_mov_b32_e32 v66, v18
	v_pk_fma_f32 v[70:71], v[16:17], v[82:83], v[54:55] op_sel:[0,0,1] op_sel_hi:[1,1,0] neg_lo:[0,0,1] neg_hi:[0,0,1]
	v_pk_fma_f32 v[54:55], v[16:17], v[82:83], v[54:55] op_sel:[0,0,1] op_sel_hi:[0,1,0]
	v_mov_b32_e32 v67, v24
	v_mov_b32_e32 v71, v55
	s_waitcnt vmcnt(9)
	v_pk_mul_f32 v[54:55], v[2:3], v[42:43] op_sel_hi:[1,0]
	v_pk_add_f32 v[68:69], v[66:67], v[58:59] neg_lo:[0,1] neg_hi:[0,1]
	v_pk_fma_f32 v[58:59], v[14:15], v[2:3], v[54:55] op_sel:[0,0,1] op_sel_hi:[1,1,0] neg_lo:[0,0,1] neg_hi:[0,0,1]
	v_pk_fma_f32 v[2:3], v[14:15], v[2:3], v[54:55] op_sel:[0,0,1] op_sel_hi:[0,1,0]
	v_mov_b32_e32 v16, v57
	global_load_dwordx4 v[54:57], v7, s[4:5] offset:288
	v_lshrrev_b32_e32 v4, 5, v4
	v_mul_u32_u24_e32 v4, 0x165, v4
	v_lshl_add_u64 v[64:65], v[4:5], 3, v[44:45]
	v_mov_b32_e32 v59, v3
	v_mov_b32_e32 v4, v47
	;; [unrolled: 1-line block ×3, first 2 shown]
	v_pk_mul_f32 v[46:47], v[16:17], v[76:77] op_sel:[0,1] op_sel_hi:[0,0]
	v_mov_b32_e32 v16, v53
	v_pk_add_f32 v[2:3], v[70:71], v[58:59] neg_lo:[0,1] neg_hi:[0,1]
	global_load_dwordx4 v[58:61], v7, s[4:5] offset:272
	v_pk_fma_f32 v[72:73], v[4:5], v[76:77], v[46:47] neg_lo:[0,0,1] neg_hi:[0,0,1]
	v_pk_fma_f32 v[46:47], v[14:15], v[76:77], v[46:47] op_sel_hi:[0,1,1]
	v_mov_b32_e32 v4, v31
	v_mov_b32_e32 v14, v31
	s_waitcnt vmcnt(10)
	v_pk_mul_f32 v[30:31], v[16:17], v[98:99] op_sel:[0,1] op_sel_hi:[0,0]
	v_mov_b32_e32 v73, v47
	v_pk_fma_f32 v[46:47], v[4:5], v[98:99], v[30:31] neg_lo:[0,0,1] neg_hi:[0,0,1]
	v_pk_fma_f32 v[30:31], v[14:15], v[98:99], v[30:31] op_sel_hi:[0,1,1]
	v_mov_b32_e32 v47, v31
	v_pk_add_f32 v[30:31], v[72:73], v[46:47] neg_lo:[0,1] neg_hi:[0,1]
	v_mov_b32_e32 v4, v49
	global_load_dwordx4 v[46:49], v7, s[4:5] offset:304
	v_pk_mul_f32 v[52:53], v[80:81], v[4:5] op_sel_hi:[1,0]
	v_mov_b32_e32 v4, v23
	v_mov_b32_e32 v14, v23
	v_pk_fma_f32 v[22:23], v[4:5], v[80:81], v[52:53] op_sel:[0,0,1] op_sel_hi:[1,1,0] neg_lo:[0,0,1] neg_hi:[0,0,1]
	v_pk_fma_f32 v[52:53], v[14:15], v[80:81], v[52:53] op_sel:[0,0,1] op_sel_hi:[0,1,0]
	v_mov_b32_e32 v23, v53
	global_load_dwordx2 v[52:53], v7, s[4:5] offset:320
	v_mov_b32_e32 v4, v51
	v_pk_mul_f32 v[50:51], v[0:1], v[4:5] op_sel_hi:[1,0]
	v_mov_b32_e32 v4, v27
	v_mov_b32_e32 v14, v27
	v_pk_fma_f32 v[26:27], v[4:5], v[0:1], v[50:51] op_sel:[0,0,1] op_sel_hi:[1,1,0] neg_lo:[0,0,1] neg_hi:[0,0,1]
	v_pk_fma_f32 v[0:1], v[14:15], v[0:1], v[50:51] op_sel:[0,0,1] op_sel_hi:[0,1,0]
	v_mov_b32_e32 v27, v1
	v_pk_add_f32 v[0:1], v[22:23], v[26:27] neg_lo:[0,1] neg_hi:[0,1]
	v_pk_fma_f32 v[26:27], v[66:67], 2.0, v[68:69] op_sel_hi:[1,0,1] neg_lo:[0,0,1] neg_hi:[0,0,1]
	v_pk_fma_f32 v[50:51], v[70:71], 2.0, v[2:3] op_sel_hi:[1,0,1] neg_lo:[0,0,1] neg_hi:[0,0,1]
	;; [unrolled: 1-line block ×4, first 2 shown]
	v_pk_add_f32 v[50:51], v[26:27], v[50:51] neg_lo:[0,1] neg_hi:[0,1]
	v_pk_add_f32 v[66:67], v[22:23], v[66:67] neg_lo:[0,1] neg_hi:[0,1]
	v_pk_fma_f32 v[26:27], v[26:27], 2.0, v[50:51] op_sel_hi:[1,0,1] neg_lo:[0,0,1] neg_hi:[0,0,1]
	v_pk_fma_f32 v[22:23], v[22:23], 2.0, v[66:67] op_sel_hi:[1,0,1] neg_lo:[0,0,1] neg_hi:[0,0,1]
	v_mov_b32_e32 v14, v41
	v_pk_add_f32 v[22:23], v[26:27], v[22:23] neg_lo:[0,1] neg_hi:[0,1]
	v_mov_b32_e32 v16, v17
	v_pk_fma_f32 v[26:27], v[26:27], 2.0, v[22:23] op_sel_hi:[1,0,1] neg_lo:[0,0,1] neg_hi:[0,0,1]
	global_store_dwordx2 v[64:65], v[26:27], off offset:136
	v_pk_add_f32 v[26:27], v[68:69], v[2:3] op_sel:[0,1] op_sel_hi:[1,0] neg_lo:[0,1] neg_hi:[0,1]
	v_pk_add_f32 v[2:3], v[68:69], v[2:3] op_sel:[0,1] op_sel_hi:[1,0]
	v_mov_b32_e32 v24, v19
	v_mov_b32_e32 v27, v3
	v_pk_add_f32 v[2:3], v[0:1], v[30:31] op_sel:[0,1] op_sel_hi:[1,0] neg_lo:[0,1] neg_hi:[0,1]
	v_pk_add_f32 v[30:31], v[0:1], v[30:31] op_sel:[0,1] op_sel_hi:[1,0]
	v_pk_fma_f32 v[68:69], v[68:69], 2.0, v[26:27] op_sel_hi:[1,0,1] neg_lo:[0,0,1] neg_hi:[0,0,1]
	v_mov_b32_e32 v3, v31
	v_pk_fma_f32 v[0:1], v[0:1], 2.0, v[2:3] op_sel_hi:[1,0,1] neg_lo:[0,0,1] neg_hi:[0,0,1]
	s_waitcnt vmcnt(4)
	v_mov_b32_e32 v20, v57
	v_pk_mul_f32 v[30:31], v[0:1], s[0:1] op_sel_hi:[1,0]
	v_pk_fma_f32 v[0:1], v[0:1], s[0:1], v[68:69] op_sel_hi:[1,0,1] neg_lo:[1,0,0] neg_hi:[1,0,0]
	s_nop 0
	v_pk_add_f32 v[70:71], v[0:1], v[30:31] op_sel:[0,1] op_sel_hi:[1,0] neg_lo:[0,1] neg_hi:[0,1]
	v_pk_add_f32 v[0:1], v[0:1], v[30:31] op_sel:[0,1] op_sel_hi:[1,0]
	v_pk_add_f32 v[30:31], v[50:51], v[66:67] op_sel:[0,1] op_sel_hi:[1,0]
	v_mov_b32_e32 v71, v1
	v_pk_fma_f32 v[0:1], v[68:69], 2.0, v[70:71] op_sel_hi:[1,0,1] neg_lo:[0,0,1] neg_hi:[0,0,1]
	global_store_dwordx2 v[64:65], v[0:1], off offset:544
	v_pk_add_f32 v[0:1], v[50:51], v[66:67] op_sel:[0,1] op_sel_hi:[1,0] neg_lo:[0,1] neg_hi:[0,1]
	s_nop 0
	v_mov_b32_e32 v1, v31
	v_pk_fma_f32 v[30:31], v[50:51], 2.0, v[0:1] op_sel_hi:[1,0,1] neg_lo:[0,0,1] neg_hi:[0,0,1]
	global_store_dwordx2 v[64:65], v[30:31], off offset:952
	v_pk_mul_f32 v[30:31], v[2:3], s[0:1] op_sel_hi:[1,0]
	v_pk_fma_f32 v[2:3], v[2:3], s[0:1], v[26:27] op_sel_hi:[1,0,1]
	s_nop 0
	v_pk_add_f32 v[50:51], v[2:3], v[30:31] op_sel:[0,1] op_sel_hi:[1,0] neg_lo:[0,1] neg_hi:[0,1]
	v_pk_add_f32 v[2:3], v[2:3], v[30:31] op_sel:[0,1] op_sel_hi:[1,0]
	s_nop 0
	v_mov_b32_e32 v51, v3
	v_pk_fma_f32 v[2:3], v[26:27], 2.0, v[50:51] op_sel_hi:[1,0,1] neg_lo:[0,0,1] neg_hi:[0,0,1]
	global_store_dwordx2 v[64:65], v[2:3], off offset:1360
	global_store_dwordx2 v[64:65], v[22:23], off offset:1768
	global_store_dwordx2 v[64:65], v[70:71], off offset:2176
	global_store_dwordx2 v[64:65], v[0:1], off offset:2584
	global_store_dwordx2 v[64:65], v[50:51], off offset:2992
	v_mul_hi_u32 v0, v62, s1
	v_lshrrev_b32_e32 v0, 5, v0
	v_mul_u32_u24_e32 v4, 0x165, v0
	v_lshl_add_u64 v[0:1], v[4:5], 3, v[44:45]
	v_mov_b32_e32 v2, v21
	v_mov_b32_e32 v4, v21
	;; [unrolled: 1-line block ×3, first 2 shown]
	v_pk_mul_f32 v[20:21], v[14:15], v[20:21] op_sel_hi:[0,1]
	v_pk_fma_f32 v[4:5], v[4:5], v[56:57], v[20:21] op_sel_hi:[0,1,1]
	v_pk_fma_f32 v[2:3], v[2:3], v[56:57], v[20:21] neg_lo:[0,0,1] neg_hi:[0,0,1]
	v_mov_b32_e32 v4, v39
	v_mov_b32_e32 v3, v5
	s_waitcnt vmcnt(10)
	v_pk_mul_f32 v[4:5], v[60:61], v[4:5] op_sel_hi:[1,0]
	v_mov_b32_e32 v14, v17
	v_pk_fma_f32 v[18:19], v[14:15], v[60:61], v[4:5] op_sel:[0,0,1] op_sel_hi:[1,1,0] neg_lo:[0,0,1] neg_hi:[0,0,1]
	v_pk_fma_f32 v[4:5], v[16:17], v[60:61], v[4:5] op_sel:[0,0,1] op_sel_hi:[0,1,0]
	v_mov_b32_e32 v4, v43
	v_mov_b32_e32 v19, v5
	s_waitcnt vmcnt(9)
	v_pk_mul_f32 v[4:5], v[48:49], v[4:5] op_sel_hi:[1,0]
	v_mov_b32_e32 v14, v15
	v_mov_b32_e32 v16, v15
	v_pk_fma_f32 v[14:15], v[14:15], v[48:49], v[4:5] op_sel:[0,0,1] op_sel_hi:[1,1,0] neg_lo:[0,0,1] neg_hi:[0,0,1]
	v_pk_fma_f32 v[4:5], v[16:17], v[48:49], v[4:5] op_sel:[0,0,1] op_sel_hi:[0,1,0]
	v_mov_b32_e32 v15, v5
	v_pk_add_f32 v[4:5], v[18:19], v[14:15] neg_lo:[0,1] neg_hi:[0,1]
	v_pk_mul_f32 v[14:15], v[34:35], v[54:55] op_sel:[0,1] op_sel_hi:[0,0]
	v_pk_fma_f32 v[16:17], v[10:11], v[54:55], v[14:15] neg_lo:[0,0,1] neg_hi:[0,0,1]
	v_pk_fma_f32 v[10:11], v[10:11], v[54:55], v[14:15] op_sel_hi:[0,1,1]
	v_mov_b32_e32 v17, v11
	s_waitcnt vmcnt(8)
	v_pk_mul_f32 v[10:11], v[32:33], v[52:53] op_sel:[0,1] op_sel_hi:[0,0]
	v_pk_fma_f32 v[14:15], v[12:13], v[52:53], v[10:11] neg_lo:[0,0,1] neg_hi:[0,0,1]
	v_pk_fma_f32 v[10:11], v[12:13], v[52:53], v[10:11] op_sel_hi:[0,1,1]
	v_mov_b32_e32 v15, v11
	v_pk_mul_f32 v[12:13], v[58:59], v[28:29] op_sel_hi:[1,0]
	v_pk_add_f32 v[10:11], v[16:17], v[14:15] neg_lo:[0,1] neg_hi:[0,1]
	v_pk_fma_f32 v[14:15], v[6:7], v[58:59], v[12:13] op_sel:[0,0,1] op_sel_hi:[1,1,0] neg_lo:[0,0,1] neg_hi:[0,0,1]
	v_pk_fma_f32 v[6:7], v[6:7], v[58:59], v[12:13] op_sel:[0,0,1] op_sel_hi:[0,1,0]
	v_mov_b32_e32 v15, v7
	v_pk_mul_f32 v[6:7], v[46:47], v[36:37] op_sel_hi:[1,0]
	v_pk_add_f32 v[2:3], v[24:25], v[2:3] neg_lo:[0,1] neg_hi:[0,1]
	v_pk_fma_f32 v[12:13], v[8:9], v[46:47], v[6:7] op_sel:[0,0,1] op_sel_hi:[1,1,0] neg_lo:[0,0,1] neg_hi:[0,0,1]
	v_pk_fma_f32 v[6:7], v[8:9], v[46:47], v[6:7] op_sel:[0,0,1] op_sel_hi:[0,1,0]
	v_mov_b32_e32 v13, v7
	v_pk_add_f32 v[6:7], v[14:15], v[12:13] neg_lo:[0,1] neg_hi:[0,1]
	v_pk_fma_f32 v[8:9], v[24:25], 2.0, v[2:3] op_sel_hi:[1,0,1] neg_lo:[0,0,1] neg_hi:[0,0,1]
	v_pk_fma_f32 v[12:13], v[18:19], 2.0, v[4:5] op_sel_hi:[1,0,1] neg_lo:[0,0,1] neg_hi:[0,0,1]
	;; [unrolled: 1-line block ×4, first 2 shown]
	v_pk_add_f32 v[12:13], v[8:9], v[12:13] neg_lo:[0,1] neg_hi:[0,1]
	v_pk_add_f32 v[16:17], v[14:15], v[16:17] neg_lo:[0,1] neg_hi:[0,1]
	v_pk_fma_f32 v[8:9], v[8:9], 2.0, v[12:13] op_sel_hi:[1,0,1] neg_lo:[0,0,1] neg_hi:[0,0,1]
	v_pk_fma_f32 v[14:15], v[14:15], 2.0, v[16:17] op_sel_hi:[1,0,1] neg_lo:[0,0,1] neg_hi:[0,0,1]
	s_nop 0
	v_pk_add_f32 v[14:15], v[8:9], v[14:15] neg_lo:[0,1] neg_hi:[0,1]
	s_nop 0
	v_pk_fma_f32 v[8:9], v[8:9], 2.0, v[14:15] op_sel_hi:[1,0,1] neg_lo:[0,0,1] neg_hi:[0,0,1]
	global_store_dwordx2 v[0:1], v[8:9], off offset:272
	v_pk_add_f32 v[8:9], v[2:3], v[4:5] op_sel:[0,1] op_sel_hi:[1,0] neg_lo:[0,1] neg_hi:[0,1]
	v_pk_add_f32 v[4:5], v[2:3], v[4:5] op_sel:[0,1] op_sel_hi:[1,0]
	s_nop 0
	v_mov_b32_e32 v9, v5
	v_pk_add_f32 v[4:5], v[6:7], v[10:11] op_sel:[0,1] op_sel_hi:[1,0] neg_lo:[0,1] neg_hi:[0,1]
	v_pk_add_f32 v[10:11], v[6:7], v[10:11] op_sel:[0,1] op_sel_hi:[1,0]
	v_pk_fma_f32 v[2:3], v[2:3], 2.0, v[8:9] op_sel_hi:[1,0,1] neg_lo:[0,0,1] neg_hi:[0,0,1]
	v_mov_b32_e32 v5, v11
	v_pk_fma_f32 v[6:7], v[6:7], 2.0, v[4:5] op_sel_hi:[1,0,1] neg_lo:[0,0,1] neg_hi:[0,0,1]
	s_nop 0
	v_pk_mul_f32 v[10:11], v[6:7], s[0:1] op_sel_hi:[1,0]
	v_pk_fma_f32 v[6:7], v[6:7], s[0:1], v[2:3] op_sel_hi:[1,0,1] neg_lo:[1,0,0] neg_hi:[1,0,0]
	s_nop 0
	v_pk_add_f32 v[18:19], v[6:7], v[10:11] op_sel:[0,1] op_sel_hi:[1,0] neg_lo:[0,1] neg_hi:[0,1]
	v_pk_add_f32 v[6:7], v[6:7], v[10:11] op_sel:[0,1] op_sel_hi:[1,0]
	s_nop 0
	v_mov_b32_e32 v19, v7
	v_pk_fma_f32 v[2:3], v[2:3], 2.0, v[18:19] op_sel_hi:[1,0,1] neg_lo:[0,0,1] neg_hi:[0,0,1]
	global_store_dwordx2 v[0:1], v[2:3], off offset:680
	v_pk_add_f32 v[2:3], v[12:13], v[16:17] op_sel:[0,1] op_sel_hi:[1,0] neg_lo:[0,1] neg_hi:[0,1]
	v_pk_add_f32 v[6:7], v[12:13], v[16:17] op_sel:[0,1] op_sel_hi:[1,0]
	s_nop 0
	v_mov_b32_e32 v3, v7
	v_pk_fma_f32 v[6:7], v[12:13], 2.0, v[2:3] op_sel_hi:[1,0,1] neg_lo:[0,0,1] neg_hi:[0,0,1]
	global_store_dwordx2 v[0:1], v[6:7], off offset:1088
	v_pk_mul_f32 v[6:7], v[4:5], s[0:1] op_sel_hi:[1,0]
	v_pk_fma_f32 v[4:5], v[4:5], s[0:1], v[8:9] op_sel_hi:[1,0,1]
	s_nop 0
	v_pk_add_f32 v[10:11], v[4:5], v[6:7] op_sel:[0,1] op_sel_hi:[1,0] neg_lo:[0,1] neg_hi:[0,1]
	v_pk_add_f32 v[4:5], v[4:5], v[6:7] op_sel:[0,1] op_sel_hi:[1,0]
	s_nop 0
	v_mov_b32_e32 v11, v5
	v_pk_fma_f32 v[4:5], v[8:9], 2.0, v[10:11] op_sel_hi:[1,0,1] neg_lo:[0,0,1] neg_hi:[0,0,1]
	global_store_dwordx2 v[0:1], v[4:5], off offset:1496
	global_store_dwordx2 v[0:1], v[14:15], off offset:1904
	;; [unrolled: 1-line block ×5, first 2 shown]
.LBB0_18:
	s_endpgm
	.section	.rodata,"a",@progbits
	.p2align	6, 0x0
	.amdhsa_kernel fft_rtc_fwd_len408_factors_17_3_8_wgs_51_tpt_17_halfLds_sp_ip_CI_unitstride_sbrr_dirReg
		.amdhsa_group_segment_fixed_size 0
		.amdhsa_private_segment_fixed_size 0
		.amdhsa_kernarg_size 88
		.amdhsa_user_sgpr_count 2
		.amdhsa_user_sgpr_dispatch_ptr 0
		.amdhsa_user_sgpr_queue_ptr 0
		.amdhsa_user_sgpr_kernarg_segment_ptr 1
		.amdhsa_user_sgpr_dispatch_id 0
		.amdhsa_user_sgpr_kernarg_preload_length 0
		.amdhsa_user_sgpr_kernarg_preload_offset 0
		.amdhsa_user_sgpr_private_segment_size 0
		.amdhsa_uses_dynamic_stack 0
		.amdhsa_enable_private_segment 0
		.amdhsa_system_sgpr_workgroup_id_x 1
		.amdhsa_system_sgpr_workgroup_id_y 0
		.amdhsa_system_sgpr_workgroup_id_z 0
		.amdhsa_system_sgpr_workgroup_info 0
		.amdhsa_system_vgpr_workitem_id 0
		.amdhsa_next_free_vgpr 195
		.amdhsa_next_free_sgpr 100
		.amdhsa_accum_offset 196
		.amdhsa_reserve_vcc 1
		.amdhsa_float_round_mode_32 0
		.amdhsa_float_round_mode_16_64 0
		.amdhsa_float_denorm_mode_32 3
		.amdhsa_float_denorm_mode_16_64 3
		.amdhsa_dx10_clamp 1
		.amdhsa_ieee_mode 1
		.amdhsa_fp16_overflow 0
		.amdhsa_tg_split 0
		.amdhsa_exception_fp_ieee_invalid_op 0
		.amdhsa_exception_fp_denorm_src 0
		.amdhsa_exception_fp_ieee_div_zero 0
		.amdhsa_exception_fp_ieee_overflow 0
		.amdhsa_exception_fp_ieee_underflow 0
		.amdhsa_exception_fp_ieee_inexact 0
		.amdhsa_exception_int_div_zero 0
	.end_amdhsa_kernel
	.text
.Lfunc_end0:
	.size	fft_rtc_fwd_len408_factors_17_3_8_wgs_51_tpt_17_halfLds_sp_ip_CI_unitstride_sbrr_dirReg, .Lfunc_end0-fft_rtc_fwd_len408_factors_17_3_8_wgs_51_tpt_17_halfLds_sp_ip_CI_unitstride_sbrr_dirReg
                                        ; -- End function
	.section	.AMDGPU.csdata,"",@progbits
; Kernel info:
; codeLenInByte = 15496
; NumSgprs: 106
; NumVgprs: 195
; NumAgprs: 0
; TotalNumVgprs: 195
; ScratchSize: 0
; MemoryBound: 0
; FloatMode: 240
; IeeeMode: 1
; LDSByteSize: 0 bytes/workgroup (compile time only)
; SGPRBlocks: 13
; VGPRBlocks: 24
; NumSGPRsForWavesPerEU: 106
; NumVGPRsForWavesPerEU: 195
; AccumOffset: 196
; Occupancy: 2
; WaveLimiterHint : 1
; COMPUTE_PGM_RSRC2:SCRATCH_EN: 0
; COMPUTE_PGM_RSRC2:USER_SGPR: 2
; COMPUTE_PGM_RSRC2:TRAP_HANDLER: 0
; COMPUTE_PGM_RSRC2:TGID_X_EN: 1
; COMPUTE_PGM_RSRC2:TGID_Y_EN: 0
; COMPUTE_PGM_RSRC2:TGID_Z_EN: 0
; COMPUTE_PGM_RSRC2:TIDIG_COMP_CNT: 0
; COMPUTE_PGM_RSRC3_GFX90A:ACCUM_OFFSET: 48
; COMPUTE_PGM_RSRC3_GFX90A:TG_SPLIT: 0
	.text
	.p2alignl 6, 3212836864
	.fill 256, 4, 3212836864
	.type	__hip_cuid_cc1e39a79721c27,@object ; @__hip_cuid_cc1e39a79721c27
	.section	.bss,"aw",@nobits
	.globl	__hip_cuid_cc1e39a79721c27
__hip_cuid_cc1e39a79721c27:
	.byte	0                               ; 0x0
	.size	__hip_cuid_cc1e39a79721c27, 1

	.ident	"AMD clang version 19.0.0git (https://github.com/RadeonOpenCompute/llvm-project roc-6.4.0 25133 c7fe45cf4b819c5991fe208aaa96edf142730f1d)"
	.section	".note.GNU-stack","",@progbits
	.addrsig
	.addrsig_sym __hip_cuid_cc1e39a79721c27
	.amdgpu_metadata
---
amdhsa.kernels:
  - .agpr_count:     0
    .args:
      - .actual_access:  read_only
        .address_space:  global
        .offset:         0
        .size:           8
        .value_kind:     global_buffer
      - .offset:         8
        .size:           8
        .value_kind:     by_value
      - .actual_access:  read_only
        .address_space:  global
        .offset:         16
        .size:           8
        .value_kind:     global_buffer
      - .actual_access:  read_only
        .address_space:  global
        .offset:         24
        .size:           8
        .value_kind:     global_buffer
      - .offset:         32
        .size:           8
        .value_kind:     by_value
      - .actual_access:  read_only
        .address_space:  global
        .offset:         40
        .size:           8
        .value_kind:     global_buffer
      - .actual_access:  read_only
        .address_space:  global
        .offset:         48
        .size:           8
        .value_kind:     global_buffer
      - .offset:         56
        .size:           4
        .value_kind:     by_value
      - .actual_access:  read_only
        .address_space:  global
        .offset:         64
        .size:           8
        .value_kind:     global_buffer
      - .actual_access:  read_only
        .address_space:  global
        .offset:         72
        .size:           8
        .value_kind:     global_buffer
      - .address_space:  global
        .offset:         80
        .size:           8
        .value_kind:     global_buffer
    .group_segment_fixed_size: 0
    .kernarg_segment_align: 8
    .kernarg_segment_size: 88
    .language:       OpenCL C
    .language_version:
      - 2
      - 0
    .max_flat_workgroup_size: 51
    .name:           fft_rtc_fwd_len408_factors_17_3_8_wgs_51_tpt_17_halfLds_sp_ip_CI_unitstride_sbrr_dirReg
    .private_segment_fixed_size: 0
    .sgpr_count:     106
    .sgpr_spill_count: 24
    .symbol:         fft_rtc_fwd_len408_factors_17_3_8_wgs_51_tpt_17_halfLds_sp_ip_CI_unitstride_sbrr_dirReg.kd
    .uniform_work_group_size: 1
    .uses_dynamic_stack: false
    .vgpr_count:     195
    .vgpr_spill_count: 0
    .wavefront_size: 64
amdhsa.target:   amdgcn-amd-amdhsa--gfx950
amdhsa.version:
  - 1
  - 2
...

	.end_amdgpu_metadata
